;; amdgpu-corpus repo=ROCm/rocSPARSE kind=compiled arch=gfx1100 opt=O3
	.text
	.amdgcn_target "amdgcn-amd-amdhsa--gfx1100"
	.amdhsa_code_object_version 6
	.section	.text._ZN9rocsparseL14nnz_kernel_rowILi64ELi16EiiDF16_EEv16rocsparse_order_T2_S2_PKT3_lPT1_,"axG",@progbits,_ZN9rocsparseL14nnz_kernel_rowILi64ELi16EiiDF16_EEv16rocsparse_order_T2_S2_PKT3_lPT1_,comdat
	.globl	_ZN9rocsparseL14nnz_kernel_rowILi64ELi16EiiDF16_EEv16rocsparse_order_T2_S2_PKT3_lPT1_ ; -- Begin function _ZN9rocsparseL14nnz_kernel_rowILi64ELi16EiiDF16_EEv16rocsparse_order_T2_S2_PKT3_lPT1_
	.p2align	8
	.type	_ZN9rocsparseL14nnz_kernel_rowILi64ELi16EiiDF16_EEv16rocsparse_order_T2_S2_PKT3_lPT1_,@function
_ZN9rocsparseL14nnz_kernel_rowILi64ELi16EiiDF16_EEv16rocsparse_order_T2_S2_PKT3_lPT1_: ; @_ZN9rocsparseL14nnz_kernel_rowILi64ELi16EiiDF16_EEv16rocsparse_order_T2_S2_PKT3_lPT1_
; %bb.0:
	s_clause 0x1
	s_load_b32 s2, s[0:1], 0x34
	s_load_b256 s[16:23], s[0:1], 0x0
	s_mov_b32 s8, 0
	s_load_b64 s[6:7], s[0:1], 0x20
	s_mov_b32 s9, s8
	s_mov_b32 s10, s8
	;; [unrolled: 1-line block ×3, first 2 shown]
	v_and_b32_e32 v1, 0x3ff, v0
	v_bfe_u32 v0, v0, 10, 10
	s_lshl_b32 s5, s15, 8
	s_mov_b32 s13, exec_lo
	s_waitcnt lgkmcnt(0)
	s_and_b32 s2, s2, 0xffff
	s_ashr_i32 s0, s18, 31
	v_mad_u32_u24 v12, v0, s2, v1
	s_lshr_b32 s0, s0, 26
	s_delay_alu instid0(SALU_CYCLE_1) | instskip(NEXT) | instid1(VALU_DEP_1)
	s_add_i32 s12, s18, s0
	v_lshrrev_b32_e32 v0, 4, v12
	v_and_b32_e32 v13, 63, v12
	s_and_not1_b32 s12, s12, 63
	s_delay_alu instid0(VALU_DEP_2) | instskip(SKIP_1) | instid1(VALU_DEP_3)
	v_and_b32_e32 v8, 0x7ffffc, v0
	v_dual_mov_b32 v0, s8 :: v_dual_mov_b32 v1, s9
	v_or_b32_e32 v10, s5, v13
	v_dual_mov_b32 v2, s10 :: v_dual_mov_b32 v3, s11
	s_delay_alu instid0(VALU_DEP_2)
	v_or_b32_e32 v16, 64, v10
	v_or_b32_e32 v15, 0x80, v10
	;; [unrolled: 1-line block ×3, first 2 shown]
	v_cmpx_gt_i32_e64 s12, v8
	s_cbranch_execz .LBB0_28
; %bb.1:
	v_lshrrev_b32_e32 v27, 6, v12
	v_cmp_gt_i32_e64 s0, s17, v10
	v_cmp_gt_i32_e64 s1, s17, v16
	v_cmp_gt_i32_e64 s2, s17, v15
	v_cmp_gt_i32_e64 s3, s17, v14
	v_lshlrev_b32_e32 v28, 2, v27
	s_cmp_lg_u32 s16, 1
	s_delay_alu instid0(VALU_DEP_1) | instskip(SKIP_1) | instid1(VALU_DEP_2)
	v_or_b32_e32 v9, 3, v28
	v_or_b32_e32 v31, 2, v28
	v_mad_u64_u32 v[4:5], null, s22, v9, 0
	v_add_nc_u32_e32 v0, s5, v13
	s_delay_alu instid0(VALU_DEP_3) | instskip(NEXT) | instid1(VALU_DEP_2)
	v_mad_u64_u32 v[21:22], null, s22, v31, 0
	v_ashrrev_i32_e32 v1, 31, v0
	s_delay_alu instid0(VALU_DEP_1)
	v_mul_lo_u32 v24, s22, v1
	v_lshlrev_b64 v[6:7], 1, v[0:1]
	v_mov_b32_e32 v1, v5
	v_mul_lo_u32 v11, s23, v0
	v_mad_u64_u32 v[2:3], null, s22, v0, 0
	v_add_nc_u32_e32 v23, 64, v0
	s_delay_alu instid0(VALU_DEP_1) | instskip(NEXT) | instid1(VALU_DEP_3)
	v_ashrrev_i32_e32 v25, 31, v23
	v_add3_u32 v3, v3, v24, v11
	v_mul_lo_u32 v26, s23, v23
	v_mad_u64_u32 v[17:18], null, s23, v9, v[1:2]
	v_mad_u64_u32 v[19:20], null, s22, v23, 0
	v_mul_lo_u32 v9, s22, v25
	v_lshlrev_b64 v[2:3], 1, v[2:3]
	v_dual_mov_b32 v1, v22 :: v_dual_add_nc_u32 v30, 0x80, v0
	v_mov_b32_e32 v5, v17
	v_mad_u64_u32 v[23:24], null, s22, v28, s[22:23]
	v_add3_u32 v20, v20, v9, v26
	s_delay_alu instid0(VALU_DEP_4)
	v_mad_u64_u32 v[25:26], null, s23, v31, v[1:2]
	v_lshlrev_b32_e32 v29, 3, v27
	v_lshlrev_b64 v[4:5], 1, v[4:5]
	v_ashrrev_i32_e32 v32, 31, v30
	v_mul_lo_u32 v31, s23, v30
	v_mov_b32_e32 v22, v25
	v_add_co_u32 v9, vcc_lo, v2, v29
	v_add_co_ci_u32_e32 v11, vcc_lo, 0, v3, vcc_lo
	v_add_co_u32 v17, vcc_lo, v4, v6
	v_add_co_ci_u32_e32 v18, vcc_lo, v5, v7, vcc_lo
	v_lshlrev_b64 v[1:2], 1, v[19:20]
	v_mad_u64_u32 v[4:5], null, s22, v30, 0
	v_mul_lo_u32 v26, s22, v32
	v_mov_b32_e32 v3, v24
	s_delay_alu instid0(VALU_DEP_4) | instskip(SKIP_1) | instid1(VALU_DEP_3)
	v_add_co_u32 v19, vcc_lo, v1, v29
	v_add_co_ci_u32_e32 v20, vcc_lo, 0, v2, vcc_lo
	v_mad_u64_u32 v[24:25], null, s23, v28, v[3:4]
	v_add_nc_u32_e32 v28, 0xc0, v0
	v_lshlrev_b64 v[2:3], 1, v[21:22]
	v_add3_u32 v5, v5, v26, v31
	v_mad_u64_u32 v[0:1], null, s22, v27, 0
	s_delay_alu instid0(VALU_DEP_4)
	v_ashrrev_i32_e32 v25, 31, v28
	v_mul_lo_u32 v31, s23, v28
	v_add_co_u32 v21, vcc_lo, v2, v6
	v_add_co_ci_u32_e32 v22, vcc_lo, v3, v7, vcc_lo
	v_lshlrev_b64 v[2:3], 1, v[4:5]
	v_mul_lo_u32 v30, s22, v25
	v_mad_u64_u32 v[25:26], null, s22, v28, 0
	s_delay_alu instid0(VALU_DEP_3) | instskip(SKIP_2) | instid1(VALU_DEP_4)
	v_mad_u64_u32 v[4:5], null, s23, v27, v[1:2]
	v_lshlrev_b64 v[27:28], 1, v[23:24]
	v_add_co_u32 v23, vcc_lo, v2, v29
	v_add3_u32 v26, v26, v30, v31
	v_add_co_ci_u32_e32 v24, vcc_lo, 0, v3, vcc_lo
	v_mov_b32_e32 v1, v4
	s_delay_alu instid0(VALU_DEP_3) | instskip(SKIP_1) | instid1(VALU_DEP_3)
	v_lshlrev_b64 v[2:3], 1, v[25:26]
	v_add_co_u32 v25, vcc_lo, v27, v6
	v_lshlrev_b64 v[0:1], 3, v[0:1]
	v_add_co_ci_u32_e32 v26, vcc_lo, v28, v7, vcc_lo
	s_delay_alu instid0(VALU_DEP_4) | instskip(SKIP_1) | instid1(VALU_DEP_4)
	v_add_co_u32 v27, vcc_lo, v2, v29
	v_add_co_ci_u32_e32 v28, vcc_lo, 0, v3, vcc_lo
	v_add_co_u32 v29, vcc_lo, v0, v6
	v_add_co_ci_u32_e32 v30, vcc_lo, v1, v7, vcc_lo
	v_mov_b32_e32 v0, s8
	v_dual_mov_b32 v2, s10 :: v_dual_mov_b32 v1, s9
	v_mov_b32_e32 v3, s11
	s_cselect_b32 s9, -1, 0
	s_lshl_b64 s[10:11], s[22:23], 7
	s_branch .LBB0_4
.LBB0_2:                                ;   in Loop: Header=BB0_4 Depth=1
	s_delay_alu instid0(VALU_DEP_1) | instskip(NEXT) | instid1(VALU_DEP_2)
	v_dual_mov_b32 v0, v4 :: v_dual_mov_b32 v1, v5
	v_dual_mov_b32 v2, v6 :: v_dual_mov_b32 v3, v7
.LBB0_3:                                ;   in Loop: Header=BB0_4 Depth=1
	s_or_b32 exec_lo, exec_lo, s4
	v_add_co_u32 v9, vcc_lo, 0x80, v9
	v_add_co_ci_u32_e32 v11, vcc_lo, 0, v11, vcc_lo
	v_add_co_u32 v17, vcc_lo, v17, s10
	v_add_co_ci_u32_e32 v18, vcc_lo, s11, v18, vcc_lo
	;; [unrolled: 2-line block ×5, first 2 shown]
	v_add_co_u32 v25, vcc_lo, v25, s10
	v_add_nc_u32_e32 v8, 64, v8
	v_add_co_ci_u32_e32 v26, vcc_lo, s11, v26, vcc_lo
	v_add_co_u32 v27, vcc_lo, 0x80, v27
	v_add_co_ci_u32_e32 v28, vcc_lo, 0, v28, vcc_lo
	s_delay_alu instid0(VALU_DEP_4) | instskip(SKIP_1) | instid1(VALU_DEP_1)
	v_cmp_le_i32_e32 vcc_lo, s12, v8
	v_add_co_u32 v29, s4, v29, s10
	v_add_co_ci_u32_e64 v30, s4, s11, v30, s4
	s_or_b32 s8, vcc_lo, s8
	s_delay_alu instid0(SALU_CYCLE_1)
	s_and_not1_b32 exec_lo, exec_lo, s8
	s_cbranch_execz .LBB0_27
.LBB0_4:                                ; =>This Inner Loop Header: Depth=1
	s_and_saveexec_b32 s4, s0
	s_cbranch_execnz .LBB0_8
; %bb.5:                                ;   in Loop: Header=BB0_4 Depth=1
	s_or_b32 exec_lo, exec_lo, s4
	s_and_saveexec_b32 s4, s1
	s_cbranch_execnz .LBB0_13
.LBB0_6:                                ;   in Loop: Header=BB0_4 Depth=1
	s_or_b32 exec_lo, exec_lo, s4
	s_and_saveexec_b32 s4, s2
	s_cbranch_execnz .LBB0_18
.LBB0_7:                                ;   in Loop: Header=BB0_4 Depth=1
	s_or_b32 exec_lo, exec_lo, s4
	s_and_saveexec_b32 s4, s3
	s_cbranch_execz .LBB0_3
	s_branch .LBB0_23
.LBB0_8:                                ;   in Loop: Header=BB0_4 Depth=1
	v_add_nc_u32_e32 v31, 1, v0
	s_and_not1_b32 vcc_lo, exec_lo, s9
	s_cbranch_vccnz .LBB0_10
; %bb.9:                                ;   in Loop: Header=BB0_4 Depth=1
	v_add_co_u32 v4, vcc_lo, s20, v9
	v_add_co_ci_u32_e32 v5, vcc_lo, s21, v11, vcc_lo
	global_load_b64 v[4:5], v[4:5], off
	s_waitcnt vmcnt(0)
	v_cmp_neq_f16_e32 vcc_lo, 0, v4
	v_lshrrev_b32_e32 v4, 16, v4
	v_cndmask_b32_e32 v6, v0, v31, vcc_lo
	s_delay_alu instid0(VALU_DEP_2) | instskip(NEXT) | instid1(VALU_DEP_2)
	v_cmp_neq_f16_e32 vcc_lo, 0, v4
	v_add_nc_u32_e32 v7, 1, v6
	s_delay_alu instid0(VALU_DEP_1) | instskip(SKIP_2) | instid1(VALU_DEP_3)
	v_cndmask_b32_e32 v4, v6, v7, vcc_lo
	v_cmp_neq_f16_e32 vcc_lo, 0, v5
	v_lshrrev_b32_e32 v7, 16, v5
	v_dual_mov_b32 v5, v1 :: v_dual_add_nc_u32 v6, 1, v4
	s_delay_alu instid0(VALU_DEP_1) | instskip(NEXT) | instid1(VALU_DEP_3)
	v_cndmask_b32_e32 v4, v4, v6, vcc_lo
	v_cmp_neq_f16_e32 vcc_lo, 0, v7
	v_dual_mov_b32 v7, v3 :: v_dual_mov_b32 v6, v2
	s_delay_alu instid0(VALU_DEP_3) | instskip(NEXT) | instid1(VALU_DEP_1)
	v_add_nc_u32_e32 v32, 1, v4
	v_cndmask_b32_e32 v4, v4, v32, vcc_lo
	s_cbranch_execz .LBB0_11
	s_branch .LBB0_12
.LBB0_10:                               ;   in Loop: Header=BB0_4 Depth=1
                                        ; implicit-def: $vgpr4_vgpr5_vgpr6_vgpr7
.LBB0_11:                               ;   in Loop: Header=BB0_4 Depth=1
	v_add_co_u32 v4, vcc_lo, s20, v29
	v_add_co_ci_u32_e32 v5, vcc_lo, s21, v30, vcc_lo
	global_load_u16 v6, v[4:5], off
	v_add_co_u32 v4, vcc_lo, s20, v25
	v_add_co_ci_u32_e32 v5, vcc_lo, s21, v26, vcc_lo
	global_load_u16 v7, v[4:5], off
	;; [unrolled: 3-line block ×4, first 2 shown]
	s_waitcnt vmcnt(3)
	v_cmp_neq_f16_e32 vcc_lo, 0, v6
	v_cndmask_b32_e32 v0, v0, v31, vcc_lo
	s_waitcnt vmcnt(2)
	v_cmp_neq_f16_e32 vcc_lo, 0, v7
	s_delay_alu instid0(VALU_DEP_2) | instskip(NEXT) | instid1(VALU_DEP_1)
	v_add_nc_u32_e32 v5, 1, v0
	v_cndmask_b32_e32 v0, v0, v5, vcc_lo
	s_waitcnt vmcnt(1)
	v_cmp_neq_f16_e32 vcc_lo, 0, v32
	s_delay_alu instid0(VALU_DEP_2) | instskip(NEXT) | instid1(VALU_DEP_1)
	v_add_nc_u32_e32 v5, 1, v0
	;; [unrolled: 5-line block ×3, first 2 shown]
	v_cndmask_b32_e32 v0, v0, v5, vcc_lo
	v_dual_mov_b32 v7, v3 :: v_dual_mov_b32 v6, v2
	s_delay_alu instid0(VALU_DEP_2)
	v_dual_mov_b32 v5, v1 :: v_dual_mov_b32 v4, v0
.LBB0_12:                               ;   in Loop: Header=BB0_4 Depth=1
	s_delay_alu instid0(VALU_DEP_1) | instskip(NEXT) | instid1(VALU_DEP_3)
	v_dual_mov_b32 v0, v4 :: v_dual_mov_b32 v1, v5
	v_dual_mov_b32 v2, v6 :: v_dual_mov_b32 v3, v7
	s_or_b32 exec_lo, exec_lo, s4
	s_and_saveexec_b32 s4, s1
	s_cbranch_execz .LBB0_6
.LBB0_13:                               ;   in Loop: Header=BB0_4 Depth=1
	v_add_nc_u32_e32 v31, 1, v1
	s_and_not1_b32 vcc_lo, exec_lo, s9
	s_cbranch_vccnz .LBB0_15
; %bb.14:                               ;   in Loop: Header=BB0_4 Depth=1
	v_add_co_u32 v4, vcc_lo, s20, v19
	v_add_co_ci_u32_e32 v5, vcc_lo, s21, v20, vcc_lo
	global_load_b64 v[4:5], v[4:5], off
	s_waitcnt vmcnt(0)
	v_cmp_neq_f16_e32 vcc_lo, 0, v4
	v_lshrrev_b32_e32 v4, 16, v4
	v_cndmask_b32_e32 v6, v1, v31, vcc_lo
	s_delay_alu instid0(VALU_DEP_2) | instskip(NEXT) | instid1(VALU_DEP_2)
	v_cmp_neq_f16_e32 vcc_lo, 0, v4
	v_add_nc_u32_e32 v7, 1, v6
	s_delay_alu instid0(VALU_DEP_1) | instskip(SKIP_2) | instid1(VALU_DEP_3)
	v_cndmask_b32_e32 v4, v6, v7, vcc_lo
	v_cmp_neq_f16_e32 vcc_lo, 0, v5
	v_lshrrev_b32_e32 v5, 16, v5
	v_add_nc_u32_e32 v6, 1, v4
	s_delay_alu instid0(VALU_DEP_1) | instskip(NEXT) | instid1(VALU_DEP_3)
	v_dual_cndmask_b32 v7, v4, v6 :: v_dual_mov_b32 v6, v2
	v_cmp_neq_f16_e32 vcc_lo, 0, v5
	v_mov_b32_e32 v4, v0
	s_delay_alu instid0(VALU_DEP_3) | instskip(NEXT) | instid1(VALU_DEP_1)
	v_add_nc_u32_e32 v32, 1, v7
	v_cndmask_b32_e32 v5, v7, v32, vcc_lo
	v_mov_b32_e32 v7, v3
	s_cbranch_execz .LBB0_16
	s_branch .LBB0_17
.LBB0_15:                               ;   in Loop: Header=BB0_4 Depth=1
                                        ; implicit-def: $vgpr4_vgpr5_vgpr6_vgpr7
.LBB0_16:                               ;   in Loop: Header=BB0_4 Depth=1
	v_add_co_u32 v4, vcc_lo, s20, v29
	v_add_co_ci_u32_e32 v5, vcc_lo, s21, v30, vcc_lo
	global_load_u16 v6, v[4:5], off offset:128
	v_add_co_u32 v4, vcc_lo, s20, v25
	v_add_co_ci_u32_e32 v5, vcc_lo, s21, v26, vcc_lo
	global_load_u16 v7, v[4:5], off offset:128
	;; [unrolled: 3-line block ×4, first 2 shown]
	s_waitcnt vmcnt(3)
	v_cmp_neq_f16_e32 vcc_lo, 0, v6
	v_cndmask_b32_e32 v1, v1, v31, vcc_lo
	s_waitcnt vmcnt(2)
	v_cmp_neq_f16_e32 vcc_lo, 0, v7
	s_delay_alu instid0(VALU_DEP_2) | instskip(NEXT) | instid1(VALU_DEP_1)
	v_add_nc_u32_e32 v5, 1, v1
	v_cndmask_b32_e32 v1, v1, v5, vcc_lo
	s_waitcnt vmcnt(1)
	v_cmp_neq_f16_e32 vcc_lo, 0, v32
	s_delay_alu instid0(VALU_DEP_2) | instskip(NEXT) | instid1(VALU_DEP_1)
	v_add_nc_u32_e32 v5, 1, v1
	;; [unrolled: 5-line block ×3, first 2 shown]
	v_cndmask_b32_e32 v1, v1, v5, vcc_lo
	v_dual_mov_b32 v7, v3 :: v_dual_mov_b32 v4, v0
	s_delay_alu instid0(VALU_DEP_2)
	v_dual_mov_b32 v6, v2 :: v_dual_mov_b32 v5, v1
.LBB0_17:                               ;   in Loop: Header=BB0_4 Depth=1
	s_delay_alu instid0(VALU_DEP_1) | instskip(NEXT) | instid1(VALU_DEP_2)
	v_dual_mov_b32 v0, v4 :: v_dual_mov_b32 v1, v5
	v_dual_mov_b32 v2, v6 :: v_dual_mov_b32 v3, v7
	s_or_b32 exec_lo, exec_lo, s4
	s_and_saveexec_b32 s4, s2
	s_cbranch_execz .LBB0_7
.LBB0_18:                               ;   in Loop: Header=BB0_4 Depth=1
	s_delay_alu instid0(VALU_DEP_1)
	v_add_nc_u32_e32 v31, 1, v2
	s_and_not1_b32 vcc_lo, exec_lo, s9
	s_cbranch_vccnz .LBB0_20
; %bb.19:                               ;   in Loop: Header=BB0_4 Depth=1
	v_add_co_u32 v4, vcc_lo, s20, v23
	v_add_co_ci_u32_e32 v5, vcc_lo, s21, v24, vcc_lo
	global_load_b64 v[4:5], v[4:5], off
	s_waitcnt vmcnt(0)
	v_cmp_neq_f16_e32 vcc_lo, 0, v4
	v_lshrrev_b32_e32 v4, 16, v4
	v_cndmask_b32_e32 v6, v2, v31, vcc_lo
	s_delay_alu instid0(VALU_DEP_2) | instskip(NEXT) | instid1(VALU_DEP_2)
	v_cmp_neq_f16_e32 vcc_lo, 0, v4
	v_add_nc_u32_e32 v7, 1, v6
	s_delay_alu instid0(VALU_DEP_1) | instskip(SKIP_2) | instid1(VALU_DEP_3)
	v_cndmask_b32_e32 v4, v6, v7, vcc_lo
	v_cmp_neq_f16_e32 vcc_lo, 0, v5
	v_lshrrev_b32_e32 v7, 16, v5
	v_dual_mov_b32 v5, v1 :: v_dual_add_nc_u32 v6, 1, v4
	s_delay_alu instid0(VALU_DEP_1) | instskip(NEXT) | instid1(VALU_DEP_3)
	v_cndmask_b32_e32 v6, v4, v6, vcc_lo
	v_cmp_neq_f16_e32 vcc_lo, 0, v7
	v_dual_mov_b32 v7, v3 :: v_dual_mov_b32 v4, v0
	s_delay_alu instid0(VALU_DEP_3) | instskip(NEXT) | instid1(VALU_DEP_1)
	v_add_nc_u32_e32 v32, 1, v6
	v_cndmask_b32_e32 v6, v6, v32, vcc_lo
	s_cbranch_execz .LBB0_21
	s_branch .LBB0_22
.LBB0_20:                               ;   in Loop: Header=BB0_4 Depth=1
                                        ; implicit-def: $vgpr4_vgpr5_vgpr6_vgpr7
.LBB0_21:                               ;   in Loop: Header=BB0_4 Depth=1
	v_add_co_u32 v4, vcc_lo, s20, v29
	v_add_co_ci_u32_e32 v5, vcc_lo, s21, v30, vcc_lo
	global_load_u16 v6, v[4:5], off offset:256
	v_add_co_u32 v4, vcc_lo, s20, v25
	v_add_co_ci_u32_e32 v5, vcc_lo, s21, v26, vcc_lo
	global_load_u16 v7, v[4:5], off offset:256
	;; [unrolled: 3-line block ×4, first 2 shown]
	s_waitcnt vmcnt(3)
	v_cmp_neq_f16_e32 vcc_lo, 0, v6
	v_cndmask_b32_e32 v2, v2, v31, vcc_lo
	s_waitcnt vmcnt(2)
	v_cmp_neq_f16_e32 vcc_lo, 0, v7
	s_delay_alu instid0(VALU_DEP_2) | instskip(NEXT) | instid1(VALU_DEP_1)
	v_add_nc_u32_e32 v5, 1, v2
	v_cndmask_b32_e32 v2, v2, v5, vcc_lo
	s_waitcnt vmcnt(1)
	v_cmp_neq_f16_e32 vcc_lo, 0, v32
	s_delay_alu instid0(VALU_DEP_2) | instskip(NEXT) | instid1(VALU_DEP_1)
	v_add_nc_u32_e32 v5, 1, v2
	;; [unrolled: 5-line block ×3, first 2 shown]
	v_cndmask_b32_e32 v2, v2, v5, vcc_lo
	v_dual_mov_b32 v7, v3 :: v_dual_mov_b32 v4, v0
	s_delay_alu instid0(VALU_DEP_2)
	v_dual_mov_b32 v5, v1 :: v_dual_mov_b32 v6, v2
.LBB0_22:                               ;   in Loop: Header=BB0_4 Depth=1
	s_delay_alu instid0(VALU_DEP_1) | instskip(NEXT) | instid1(VALU_DEP_2)
	v_dual_mov_b32 v0, v4 :: v_dual_mov_b32 v1, v5
	v_dual_mov_b32 v2, v6 :: v_dual_mov_b32 v3, v7
	s_or_b32 exec_lo, exec_lo, s4
	s_and_saveexec_b32 s4, s3
	s_cbranch_execz .LBB0_3
.LBB0_23:                               ;   in Loop: Header=BB0_4 Depth=1
	s_delay_alu instid0(VALU_DEP_1)
	v_add_nc_u32_e32 v31, 1, v3
	s_and_not1_b32 vcc_lo, exec_lo, s9
	s_cbranch_vccnz .LBB0_25
; %bb.24:                               ;   in Loop: Header=BB0_4 Depth=1
	v_add_co_u32 v4, vcc_lo, s20, v27
	v_add_co_ci_u32_e32 v5, vcc_lo, s21, v28, vcc_lo
	global_load_b64 v[4:5], v[4:5], off
	s_waitcnt vmcnt(0)
	v_cmp_neq_f16_e32 vcc_lo, 0, v4
	v_lshrrev_b32_e32 v4, 16, v4
	v_cndmask_b32_e32 v6, v3, v31, vcc_lo
	s_delay_alu instid0(VALU_DEP_2) | instskip(NEXT) | instid1(VALU_DEP_2)
	v_cmp_neq_f16_e32 vcc_lo, 0, v4
	v_add_nc_u32_e32 v7, 1, v6
	s_delay_alu instid0(VALU_DEP_1) | instskip(SKIP_2) | instid1(VALU_DEP_3)
	v_cndmask_b32_e32 v4, v6, v7, vcc_lo
	v_cmp_neq_f16_e32 vcc_lo, 0, v5
	v_lshrrev_b32_e32 v7, 16, v5
	v_dual_mov_b32 v5, v1 :: v_dual_add_nc_u32 v6, 1, v4
	s_delay_alu instid0(VALU_DEP_1) | instskip(SKIP_1) | instid1(VALU_DEP_4)
	v_cndmask_b32_e32 v6, v4, v6, vcc_lo
	v_mov_b32_e32 v4, v0
	v_cmp_neq_f16_e32 vcc_lo, 0, v7
	s_delay_alu instid0(VALU_DEP_3) | instskip(NEXT) | instid1(VALU_DEP_1)
	v_add_nc_u32_e32 v32, 1, v6
	v_cndmask_b32_e32 v7, v6, v32, vcc_lo
	v_mov_b32_e32 v6, v2
	s_cbranch_execnz .LBB0_2
	s_branch .LBB0_26
.LBB0_25:                               ;   in Loop: Header=BB0_4 Depth=1
                                        ; implicit-def: $vgpr4_vgpr5_vgpr6_vgpr7
.LBB0_26:                               ;   in Loop: Header=BB0_4 Depth=1
	v_add_co_u32 v4, vcc_lo, s20, v29
	v_add_co_ci_u32_e32 v5, vcc_lo, s21, v30, vcc_lo
	global_load_u16 v6, v[4:5], off offset:384
	v_add_co_u32 v4, vcc_lo, s20, v25
	v_add_co_ci_u32_e32 v5, vcc_lo, s21, v26, vcc_lo
	global_load_u16 v7, v[4:5], off offset:384
	;; [unrolled: 3-line block ×4, first 2 shown]
	s_waitcnt vmcnt(3)
	v_cmp_neq_f16_e32 vcc_lo, 0, v6
	v_cndmask_b32_e32 v3, v3, v31, vcc_lo
	s_waitcnt vmcnt(2)
	v_cmp_neq_f16_e32 vcc_lo, 0, v7
	s_delay_alu instid0(VALU_DEP_2) | instskip(NEXT) | instid1(VALU_DEP_1)
	v_add_nc_u32_e32 v5, 1, v3
	v_cndmask_b32_e32 v3, v3, v5, vcc_lo
	s_waitcnt vmcnt(1)
	v_cmp_neq_f16_e32 vcc_lo, 0, v32
	s_delay_alu instid0(VALU_DEP_2) | instskip(NEXT) | instid1(VALU_DEP_1)
	v_add_nc_u32_e32 v5, 1, v3
	;; [unrolled: 5-line block ×3, first 2 shown]
	v_cndmask_b32_e32 v3, v3, v5, vcc_lo
	s_delay_alu instid0(VALU_DEP_1)
	v_dual_mov_b32 v7, v3 :: v_dual_mov_b32 v4, v0
	v_dual_mov_b32 v6, v2 :: v_dual_mov_b32 v5, v1
	s_branch .LBB0_2
.LBB0_27:
	s_or_b32 exec_lo, exec_lo, s8
.LBB0_28:
	s_delay_alu instid0(SALU_CYCLE_1) | instskip(SKIP_1) | instid1(SALU_CYCLE_1)
	s_or_b32 exec_lo, exec_lo, s13
	s_sub_i32 s0, s18, s12
	s_cmp_lt_i32 s0, 1
	s_cbranch_scc1 .LBB0_126
; %bb.29:
	v_mov_b32_e32 v9, 0
	s_cmp_eq_u32 s16, 1
	v_ashrrev_i32_e32 v11, 31, v10
	s_cselect_b32 s1, -1, 0
	s_cmp_lg_u32 s16, 1
	v_lshlrev_b64 v[4:5], 1, v[8:9]
	s_mov_b32 s2, exec_lo
	s_delay_alu instid0(VALU_DEP_1) | instskip(NEXT) | instid1(VALU_DEP_1)
	v_add_co_u32 v9, s0, s20, v4
	v_add_co_ci_u32_e64 v17, s0, s21, v5, s0
	s_cselect_b32 s0, -1, 0
	v_cmpx_gt_i32_e64 s17, v10
	s_cbranch_execnz .LBB0_33
; %bb.30:
	s_or_b32 exec_lo, exec_lo, s2
	s_delay_alu instid0(SALU_CYCLE_1)
	s_mov_b32 s2, exec_lo
	v_cmpx_gt_i32_e64 s17, v16
	s_cbranch_execnz .LBB0_56
.LBB0_31:
	s_or_b32 exec_lo, exec_lo, s2
	s_delay_alu instid0(SALU_CYCLE_1)
	s_mov_b32 s2, exec_lo
	v_cmpx_gt_i32_e64 s17, v15
	s_cbranch_execnz .LBB0_79
.LBB0_32:
	s_or_b32 exec_lo, exec_lo, s2
	s_delay_alu instid0(SALU_CYCLE_1)
	s_mov_b32 s2, exec_lo
	v_cmpx_gt_i32_e64 s17, v14
	s_cbranch_execnz .LBB0_102
	s_branch .LBB0_125
.LBB0_33:
	v_mul_lo_u32 v6, v10, s23
	v_mul_lo_u32 v7, v11, s22
	v_mad_u64_u32 v[4:5], null, v10, s22, 0
	s_mov_b32 s3, exec_lo
	s_delay_alu instid0(VALU_DEP_1) | instskip(SKIP_1) | instid1(VALU_DEP_2)
	v_add3_u32 v5, v5, v6, v7
	v_lshlrev_b64 v[6:7], 1, v[10:11]
	v_lshlrev_b64 v[4:5], 1, v[4:5]
	s_delay_alu instid0(VALU_DEP_2) | instskip(NEXT) | instid1(VALU_DEP_3)
	v_add_co_u32 v18, vcc_lo, s20, v6
	v_add_co_ci_u32_e32 v19, vcc_lo, s21, v7, vcc_lo
	s_delay_alu instid0(VALU_DEP_3) | instskip(NEXT) | instid1(VALU_DEP_4)
	v_add_co_u32 v4, vcc_lo, v9, v4
	v_add_co_ci_u32_e32 v5, vcc_lo, v17, v5, vcc_lo
	v_cmpx_gt_i32_e64 s18, v8
	s_cbranch_execz .LBB0_37
; %bb.34:
	s_delay_alu instid0(VALU_DEP_2)
	v_dual_mov_b32 v7, v5 :: v_dual_mov_b32 v6, v4
	s_and_not1_b32 vcc_lo, exec_lo, s1
	s_cbranch_vccnz .LBB0_36
; %bb.35:
	v_mad_u64_u32 v[6:7], null, v8, s22, 0
	s_delay_alu instid0(VALU_DEP_1) | instskip(NEXT) | instid1(VALU_DEP_1)
	v_mad_u64_u32 v[20:21], null, v8, s23, v[7:8]
	v_mov_b32_e32 v7, v20
	s_delay_alu instid0(VALU_DEP_1) | instskip(NEXT) | instid1(VALU_DEP_1)
	v_lshlrev_b64 v[6:7], 1, v[6:7]
	v_add_co_u32 v6, vcc_lo, v18, v6
	s_delay_alu instid0(VALU_DEP_2)
	v_add_co_ci_u32_e32 v7, vcc_lo, v19, v7, vcc_lo
.LBB0_36:
	global_load_u16 v6, v[6:7], off
	s_waitcnt vmcnt(0)
	v_cmp_neq_f16_e32 vcc_lo, 0, v6
	v_add_co_ci_u32_e32 v0, vcc_lo, 0, v0, vcc_lo
.LBB0_37:
	s_or_b32 exec_lo, exec_lo, s3
	v_or_b32_e32 v20, 1, v8
	s_mov_b32 s3, exec_lo
	s_delay_alu instid0(VALU_DEP_1)
	v_cmpx_gt_i32_e64 s18, v20
	s_cbranch_execz .LBB0_43
; %bb.38:
	s_and_not1_b32 vcc_lo, exec_lo, s0
	s_cbranch_vccnz .LBB0_40
; %bb.39:
	v_add_co_u32 v6, vcc_lo, v4, 2
	v_add_co_ci_u32_e32 v7, vcc_lo, 0, v5, vcc_lo
	s_cbranch_execz .LBB0_41
	s_branch .LBB0_42
.LBB0_40:
                                        ; implicit-def: $vgpr6_vgpr7
.LBB0_41:
	v_mad_u64_u32 v[6:7], null, v20, s22, 0
	s_delay_alu instid0(VALU_DEP_1) | instskip(NEXT) | instid1(VALU_DEP_1)
	v_mad_u64_u32 v[21:22], null, v20, s23, v[7:8]
	v_mov_b32_e32 v7, v21
	s_delay_alu instid0(VALU_DEP_1) | instskip(NEXT) | instid1(VALU_DEP_1)
	v_lshlrev_b64 v[6:7], 1, v[6:7]
	v_add_co_u32 v6, vcc_lo, v18, v6
	s_delay_alu instid0(VALU_DEP_2)
	v_add_co_ci_u32_e32 v7, vcc_lo, v19, v7, vcc_lo
.LBB0_42:
	global_load_u16 v6, v[6:7], off
	s_waitcnt vmcnt(0)
	v_cmp_neq_f16_e32 vcc_lo, 0, v6
	v_add_co_ci_u32_e32 v0, vcc_lo, 0, v0, vcc_lo
.LBB0_43:
	s_or_b32 exec_lo, exec_lo, s3
	v_or_b32_e32 v20, 2, v8
	s_mov_b32 s3, exec_lo
	s_delay_alu instid0(VALU_DEP_1)
	v_cmpx_gt_i32_e64 s18, v20
	s_cbranch_execz .LBB0_49
; %bb.44:
	s_and_not1_b32 vcc_lo, exec_lo, s0
	s_cbranch_vccnz .LBB0_46
; %bb.45:
	v_add_co_u32 v6, vcc_lo, v4, 4
	v_add_co_ci_u32_e32 v7, vcc_lo, 0, v5, vcc_lo
	s_cbranch_execz .LBB0_47
	s_branch .LBB0_48
.LBB0_46:
                                        ; implicit-def: $vgpr6_vgpr7
.LBB0_47:
	v_mad_u64_u32 v[6:7], null, v20, s22, 0
	s_delay_alu instid0(VALU_DEP_1) | instskip(NEXT) | instid1(VALU_DEP_1)
	v_mad_u64_u32 v[21:22], null, v20, s23, v[7:8]
	v_mov_b32_e32 v7, v21
	s_delay_alu instid0(VALU_DEP_1) | instskip(NEXT) | instid1(VALU_DEP_1)
	v_lshlrev_b64 v[6:7], 1, v[6:7]
	v_add_co_u32 v6, vcc_lo, v18, v6
	s_delay_alu instid0(VALU_DEP_2)
	v_add_co_ci_u32_e32 v7, vcc_lo, v19, v7, vcc_lo
.LBB0_48:
	global_load_u16 v6, v[6:7], off
	s_waitcnt vmcnt(0)
	v_cmp_neq_f16_e32 vcc_lo, 0, v6
	v_add_co_ci_u32_e32 v0, vcc_lo, 0, v0, vcc_lo
.LBB0_49:
	s_or_b32 exec_lo, exec_lo, s3
	v_or_b32_e32 v6, 3, v8
	s_mov_b32 s3, exec_lo
	s_delay_alu instid0(VALU_DEP_1)
	v_cmpx_gt_i32_e64 s18, v6
	s_cbranch_execz .LBB0_55
; %bb.50:
	s_and_not1_b32 vcc_lo, exec_lo, s0
	s_cbranch_vccnz .LBB0_52
; %bb.51:
	v_add_co_u32 v4, vcc_lo, v4, 6
	v_add_co_ci_u32_e32 v5, vcc_lo, 0, v5, vcc_lo
	s_cbranch_execz .LBB0_53
	s_branch .LBB0_54
.LBB0_52:
                                        ; implicit-def: $vgpr4_vgpr5
.LBB0_53:
	v_mad_u64_u32 v[4:5], null, v6, s22, 0
	s_delay_alu instid0(VALU_DEP_1) | instskip(NEXT) | instid1(VALU_DEP_1)
	v_mad_u64_u32 v[20:21], null, v6, s23, v[5:6]
	v_mov_b32_e32 v5, v20
	s_delay_alu instid0(VALU_DEP_1) | instskip(NEXT) | instid1(VALU_DEP_1)
	v_lshlrev_b64 v[4:5], 1, v[4:5]
	v_add_co_u32 v4, vcc_lo, v18, v4
	s_delay_alu instid0(VALU_DEP_2)
	v_add_co_ci_u32_e32 v5, vcc_lo, v19, v5, vcc_lo
.LBB0_54:
	global_load_u16 v4, v[4:5], off
	s_waitcnt vmcnt(0)
	v_cmp_neq_f16_e32 vcc_lo, 0, v4
	v_add_co_ci_u32_e32 v0, vcc_lo, 0, v0, vcc_lo
.LBB0_55:
	s_or_b32 exec_lo, exec_lo, s3
	s_delay_alu instid0(SALU_CYCLE_1) | instskip(NEXT) | instid1(SALU_CYCLE_1)
	s_or_b32 exec_lo, exec_lo, s2
	s_mov_b32 s2, exec_lo
	v_cmpx_gt_i32_e64 s17, v16
	s_cbranch_execz .LBB0_31
.LBB0_56:
	v_ashrrev_i32_e32 v6, 31, v16
	v_mul_lo_u32 v7, v16, s23
	v_mad_u64_u32 v[4:5], null, v16, s22, 0
	s_mov_b32 s3, exec_lo
	s_delay_alu instid0(VALU_DEP_3) | instskip(NEXT) | instid1(VALU_DEP_1)
	v_mul_lo_u32 v6, v6, s22
	v_add3_u32 v5, v5, v7, v6
	v_lshlrev_b64 v[6:7], 1, v[10:11]
	s_delay_alu instid0(VALU_DEP_2) | instskip(NEXT) | instid1(VALU_DEP_2)
	v_lshlrev_b64 v[4:5], 1, v[4:5]
	v_add_co_u32 v16, vcc_lo, s20, v6
	s_delay_alu instid0(VALU_DEP_3) | instskip(NEXT) | instid1(VALU_DEP_3)
	v_add_co_ci_u32_e32 v18, vcc_lo, s21, v7, vcc_lo
	v_add_co_u32 v4, vcc_lo, v9, v4
	s_delay_alu instid0(VALU_DEP_4)
	v_add_co_ci_u32_e32 v5, vcc_lo, v17, v5, vcc_lo
	v_cmpx_gt_i32_e64 s18, v8
	s_cbranch_execz .LBB0_60
; %bb.57:
	s_delay_alu instid0(VALU_DEP_2)
	v_dual_mov_b32 v7, v5 :: v_dual_mov_b32 v6, v4
	s_and_not1_b32 vcc_lo, exec_lo, s1
	s_cbranch_vccnz .LBB0_59
; %bb.58:
	v_mad_u64_u32 v[6:7], null, v8, s22, 0
	s_delay_alu instid0(VALU_DEP_1) | instskip(NEXT) | instid1(VALU_DEP_1)
	v_mad_u64_u32 v[19:20], null, v8, s23, v[7:8]
	v_mov_b32_e32 v7, v19
	s_delay_alu instid0(VALU_DEP_1) | instskip(NEXT) | instid1(VALU_DEP_1)
	v_lshlrev_b64 v[6:7], 1, v[6:7]
	v_add_co_u32 v6, vcc_lo, v16, v6
	s_delay_alu instid0(VALU_DEP_2) | instskip(NEXT) | instid1(VALU_DEP_2)
	v_add_co_ci_u32_e32 v7, vcc_lo, v18, v7, vcc_lo
	v_add_co_u32 v6, vcc_lo, 0x80, v6
	s_delay_alu instid0(VALU_DEP_2)
	v_add_co_ci_u32_e32 v7, vcc_lo, 0, v7, vcc_lo
.LBB0_59:
	global_load_u16 v6, v[6:7], off
	s_waitcnt vmcnt(0)
	v_cmp_neq_f16_e32 vcc_lo, 0, v6
	v_add_co_ci_u32_e32 v1, vcc_lo, 0, v1, vcc_lo
.LBB0_60:
	s_or_b32 exec_lo, exec_lo, s3
	v_or_b32_e32 v19, 1, v8
	s_mov_b32 s3, exec_lo
	s_delay_alu instid0(VALU_DEP_1)
	v_cmpx_gt_i32_e64 s18, v19
	s_cbranch_execz .LBB0_66
; %bb.61:
	s_and_not1_b32 vcc_lo, exec_lo, s0
	s_cbranch_vccnz .LBB0_63
; %bb.62:
	v_add_co_u32 v6, vcc_lo, v4, 2
	v_add_co_ci_u32_e32 v7, vcc_lo, 0, v5, vcc_lo
	s_cbranch_execz .LBB0_64
	s_branch .LBB0_65
.LBB0_63:
                                        ; implicit-def: $vgpr6_vgpr7
.LBB0_64:
	v_mad_u64_u32 v[6:7], null, v19, s22, 0
	s_delay_alu instid0(VALU_DEP_1) | instskip(NEXT) | instid1(VALU_DEP_1)
	v_mad_u64_u32 v[20:21], null, v19, s23, v[7:8]
	v_mov_b32_e32 v7, v20
	s_delay_alu instid0(VALU_DEP_1) | instskip(NEXT) | instid1(VALU_DEP_1)
	v_lshlrev_b64 v[6:7], 1, v[6:7]
	v_add_co_u32 v6, vcc_lo, v16, v6
	s_delay_alu instid0(VALU_DEP_2) | instskip(NEXT) | instid1(VALU_DEP_2)
	v_add_co_ci_u32_e32 v7, vcc_lo, v18, v7, vcc_lo
	v_add_co_u32 v6, vcc_lo, 0x80, v6
	s_delay_alu instid0(VALU_DEP_2)
	v_add_co_ci_u32_e32 v7, vcc_lo, 0, v7, vcc_lo
.LBB0_65:
	global_load_u16 v6, v[6:7], off
	s_waitcnt vmcnt(0)
	v_cmp_neq_f16_e32 vcc_lo, 0, v6
	v_add_co_ci_u32_e32 v1, vcc_lo, 0, v1, vcc_lo
.LBB0_66:
	s_or_b32 exec_lo, exec_lo, s3
	v_or_b32_e32 v19, 2, v8
	s_mov_b32 s3, exec_lo
	s_delay_alu instid0(VALU_DEP_1)
	v_cmpx_gt_i32_e64 s18, v19
	s_cbranch_execz .LBB0_72
; %bb.67:
	s_and_not1_b32 vcc_lo, exec_lo, s0
	s_cbranch_vccnz .LBB0_69
; %bb.68:
	v_add_co_u32 v6, vcc_lo, v4, 4
	v_add_co_ci_u32_e32 v7, vcc_lo, 0, v5, vcc_lo
	s_cbranch_execz .LBB0_70
	s_branch .LBB0_71
.LBB0_69:
                                        ; implicit-def: $vgpr6_vgpr7
.LBB0_70:
	v_mad_u64_u32 v[6:7], null, v19, s22, 0
	s_delay_alu instid0(VALU_DEP_1) | instskip(NEXT) | instid1(VALU_DEP_1)
	v_mad_u64_u32 v[20:21], null, v19, s23, v[7:8]
	v_mov_b32_e32 v7, v20
	s_delay_alu instid0(VALU_DEP_1) | instskip(NEXT) | instid1(VALU_DEP_1)
	v_lshlrev_b64 v[6:7], 1, v[6:7]
	v_add_co_u32 v6, vcc_lo, v16, v6
	s_delay_alu instid0(VALU_DEP_2) | instskip(NEXT) | instid1(VALU_DEP_2)
	v_add_co_ci_u32_e32 v7, vcc_lo, v18, v7, vcc_lo
	v_add_co_u32 v6, vcc_lo, 0x80, v6
	s_delay_alu instid0(VALU_DEP_2)
	v_add_co_ci_u32_e32 v7, vcc_lo, 0, v7, vcc_lo
.LBB0_71:
	global_load_u16 v6, v[6:7], off
	s_waitcnt vmcnt(0)
	v_cmp_neq_f16_e32 vcc_lo, 0, v6
	v_add_co_ci_u32_e32 v1, vcc_lo, 0, v1, vcc_lo
.LBB0_72:
	s_or_b32 exec_lo, exec_lo, s3
	v_or_b32_e32 v6, 3, v8
	s_mov_b32 s3, exec_lo
	s_delay_alu instid0(VALU_DEP_1)
	v_cmpx_gt_i32_e64 s18, v6
	s_cbranch_execz .LBB0_78
; %bb.73:
	s_and_not1_b32 vcc_lo, exec_lo, s0
	s_cbranch_vccnz .LBB0_75
; %bb.74:
	v_add_co_u32 v4, vcc_lo, v4, 6
	v_add_co_ci_u32_e32 v5, vcc_lo, 0, v5, vcc_lo
	s_cbranch_execz .LBB0_76
	s_branch .LBB0_77
.LBB0_75:
                                        ; implicit-def: $vgpr4_vgpr5
.LBB0_76:
	v_mad_u64_u32 v[4:5], null, v6, s22, 0
	s_delay_alu instid0(VALU_DEP_1) | instskip(NEXT) | instid1(VALU_DEP_1)
	v_mad_u64_u32 v[19:20], null, v6, s23, v[5:6]
	v_mov_b32_e32 v5, v19
	s_delay_alu instid0(VALU_DEP_1) | instskip(NEXT) | instid1(VALU_DEP_1)
	v_lshlrev_b64 v[4:5], 1, v[4:5]
	v_add_co_u32 v4, vcc_lo, v16, v4
	s_delay_alu instid0(VALU_DEP_2) | instskip(NEXT) | instid1(VALU_DEP_2)
	v_add_co_ci_u32_e32 v5, vcc_lo, v18, v5, vcc_lo
	v_add_co_u32 v4, vcc_lo, 0x80, v4
	s_delay_alu instid0(VALU_DEP_2)
	v_add_co_ci_u32_e32 v5, vcc_lo, 0, v5, vcc_lo
.LBB0_77:
	global_load_u16 v4, v[4:5], off
	s_waitcnt vmcnt(0)
	v_cmp_neq_f16_e32 vcc_lo, 0, v4
	v_add_co_ci_u32_e32 v1, vcc_lo, 0, v1, vcc_lo
.LBB0_78:
	s_or_b32 exec_lo, exec_lo, s3
	s_delay_alu instid0(SALU_CYCLE_1) | instskip(NEXT) | instid1(SALU_CYCLE_1)
	s_or_b32 exec_lo, exec_lo, s2
	s_mov_b32 s2, exec_lo
	v_cmpx_gt_i32_e64 s17, v15
	s_cbranch_execz .LBB0_32
.LBB0_79:
	v_ashrrev_i32_e32 v6, 31, v15
	v_mul_lo_u32 v7, v15, s23
	v_mad_u64_u32 v[4:5], null, v15, s22, 0
	s_mov_b32 s3, exec_lo
	s_delay_alu instid0(VALU_DEP_3) | instskip(NEXT) | instid1(VALU_DEP_1)
	v_mul_lo_u32 v6, v6, s22
	v_add3_u32 v5, v5, v7, v6
	v_lshlrev_b64 v[6:7], 1, v[10:11]
	s_delay_alu instid0(VALU_DEP_2) | instskip(NEXT) | instid1(VALU_DEP_2)
	v_lshlrev_b64 v[4:5], 1, v[4:5]
	v_add_co_u32 v15, vcc_lo, s20, v6
	s_delay_alu instid0(VALU_DEP_3) | instskip(NEXT) | instid1(VALU_DEP_3)
	v_add_co_ci_u32_e32 v16, vcc_lo, s21, v7, vcc_lo
	v_add_co_u32 v4, vcc_lo, v9, v4
	s_delay_alu instid0(VALU_DEP_4)
	v_add_co_ci_u32_e32 v5, vcc_lo, v17, v5, vcc_lo
	v_cmpx_gt_i32_e64 s18, v8
	s_cbranch_execz .LBB0_83
; %bb.80:
	s_delay_alu instid0(VALU_DEP_2)
	v_dual_mov_b32 v7, v5 :: v_dual_mov_b32 v6, v4
	s_and_not1_b32 vcc_lo, exec_lo, s1
	s_cbranch_vccnz .LBB0_82
; %bb.81:
	v_mad_u64_u32 v[6:7], null, v8, s22, 0
	s_delay_alu instid0(VALU_DEP_1) | instskip(NEXT) | instid1(VALU_DEP_1)
	v_mad_u64_u32 v[18:19], null, v8, s23, v[7:8]
	v_mov_b32_e32 v7, v18
	s_delay_alu instid0(VALU_DEP_1) | instskip(NEXT) | instid1(VALU_DEP_1)
	v_lshlrev_b64 v[6:7], 1, v[6:7]
	v_add_co_u32 v6, vcc_lo, v15, v6
	s_delay_alu instid0(VALU_DEP_2) | instskip(NEXT) | instid1(VALU_DEP_2)
	v_add_co_ci_u32_e32 v7, vcc_lo, v16, v7, vcc_lo
	v_add_co_u32 v6, vcc_lo, 0x100, v6
	s_delay_alu instid0(VALU_DEP_2)
	v_add_co_ci_u32_e32 v7, vcc_lo, 0, v7, vcc_lo
.LBB0_82:
	global_load_u16 v6, v[6:7], off
	s_waitcnt vmcnt(0)
	v_cmp_neq_f16_e32 vcc_lo, 0, v6
	v_add_co_ci_u32_e32 v2, vcc_lo, 0, v2, vcc_lo
.LBB0_83:
	s_or_b32 exec_lo, exec_lo, s3
	v_or_b32_e32 v18, 1, v8
	s_mov_b32 s3, exec_lo
	s_delay_alu instid0(VALU_DEP_1)
	v_cmpx_gt_i32_e64 s18, v18
	s_cbranch_execz .LBB0_89
; %bb.84:
	s_and_not1_b32 vcc_lo, exec_lo, s0
	s_cbranch_vccnz .LBB0_86
; %bb.85:
	v_add_co_u32 v6, vcc_lo, v4, 2
	v_add_co_ci_u32_e32 v7, vcc_lo, 0, v5, vcc_lo
	s_cbranch_execz .LBB0_87
	s_branch .LBB0_88
.LBB0_86:
                                        ; implicit-def: $vgpr6_vgpr7
.LBB0_87:
	v_mad_u64_u32 v[6:7], null, v18, s22, 0
	s_delay_alu instid0(VALU_DEP_1) | instskip(NEXT) | instid1(VALU_DEP_1)
	v_mad_u64_u32 v[19:20], null, v18, s23, v[7:8]
	v_mov_b32_e32 v7, v19
	s_delay_alu instid0(VALU_DEP_1) | instskip(NEXT) | instid1(VALU_DEP_1)
	v_lshlrev_b64 v[6:7], 1, v[6:7]
	v_add_co_u32 v6, vcc_lo, v15, v6
	s_delay_alu instid0(VALU_DEP_2) | instskip(NEXT) | instid1(VALU_DEP_2)
	v_add_co_ci_u32_e32 v7, vcc_lo, v16, v7, vcc_lo
	v_add_co_u32 v6, vcc_lo, 0x100, v6
	s_delay_alu instid0(VALU_DEP_2)
	v_add_co_ci_u32_e32 v7, vcc_lo, 0, v7, vcc_lo
.LBB0_88:
	global_load_u16 v6, v[6:7], off
	s_waitcnt vmcnt(0)
	v_cmp_neq_f16_e32 vcc_lo, 0, v6
	v_add_co_ci_u32_e32 v2, vcc_lo, 0, v2, vcc_lo
.LBB0_89:
	s_or_b32 exec_lo, exec_lo, s3
	v_or_b32_e32 v18, 2, v8
	s_mov_b32 s3, exec_lo
	s_delay_alu instid0(VALU_DEP_1)
	v_cmpx_gt_i32_e64 s18, v18
	s_cbranch_execz .LBB0_95
; %bb.90:
	s_and_not1_b32 vcc_lo, exec_lo, s0
	s_cbranch_vccnz .LBB0_92
; %bb.91:
	v_add_co_u32 v6, vcc_lo, v4, 4
	v_add_co_ci_u32_e32 v7, vcc_lo, 0, v5, vcc_lo
	s_cbranch_execz .LBB0_93
	s_branch .LBB0_94
.LBB0_92:
                                        ; implicit-def: $vgpr6_vgpr7
.LBB0_93:
	v_mad_u64_u32 v[6:7], null, v18, s22, 0
	s_delay_alu instid0(VALU_DEP_1) | instskip(NEXT) | instid1(VALU_DEP_1)
	v_mad_u64_u32 v[19:20], null, v18, s23, v[7:8]
	v_mov_b32_e32 v7, v19
	s_delay_alu instid0(VALU_DEP_1) | instskip(NEXT) | instid1(VALU_DEP_1)
	v_lshlrev_b64 v[6:7], 1, v[6:7]
	v_add_co_u32 v6, vcc_lo, v15, v6
	s_delay_alu instid0(VALU_DEP_2) | instskip(NEXT) | instid1(VALU_DEP_2)
	v_add_co_ci_u32_e32 v7, vcc_lo, v16, v7, vcc_lo
	v_add_co_u32 v6, vcc_lo, 0x100, v6
	s_delay_alu instid0(VALU_DEP_2)
	v_add_co_ci_u32_e32 v7, vcc_lo, 0, v7, vcc_lo
.LBB0_94:
	global_load_u16 v6, v[6:7], off
	s_waitcnt vmcnt(0)
	v_cmp_neq_f16_e32 vcc_lo, 0, v6
	v_add_co_ci_u32_e32 v2, vcc_lo, 0, v2, vcc_lo
.LBB0_95:
	s_or_b32 exec_lo, exec_lo, s3
	v_or_b32_e32 v6, 3, v8
	s_mov_b32 s3, exec_lo
	s_delay_alu instid0(VALU_DEP_1)
	v_cmpx_gt_i32_e64 s18, v6
	s_cbranch_execz .LBB0_101
; %bb.96:
	s_and_not1_b32 vcc_lo, exec_lo, s0
	s_cbranch_vccnz .LBB0_98
; %bb.97:
	v_add_co_u32 v4, vcc_lo, v4, 6
	v_add_co_ci_u32_e32 v5, vcc_lo, 0, v5, vcc_lo
	s_cbranch_execz .LBB0_99
	s_branch .LBB0_100
.LBB0_98:
                                        ; implicit-def: $vgpr4_vgpr5
.LBB0_99:
	v_mad_u64_u32 v[4:5], null, v6, s22, 0
	s_delay_alu instid0(VALU_DEP_1) | instskip(NEXT) | instid1(VALU_DEP_1)
	v_mad_u64_u32 v[18:19], null, v6, s23, v[5:6]
	v_mov_b32_e32 v5, v18
	s_delay_alu instid0(VALU_DEP_1) | instskip(NEXT) | instid1(VALU_DEP_1)
	v_lshlrev_b64 v[4:5], 1, v[4:5]
	v_add_co_u32 v4, vcc_lo, v15, v4
	s_delay_alu instid0(VALU_DEP_2) | instskip(NEXT) | instid1(VALU_DEP_2)
	v_add_co_ci_u32_e32 v5, vcc_lo, v16, v5, vcc_lo
	v_add_co_u32 v4, vcc_lo, 0x100, v4
	s_delay_alu instid0(VALU_DEP_2)
	v_add_co_ci_u32_e32 v5, vcc_lo, 0, v5, vcc_lo
.LBB0_100:
	global_load_u16 v4, v[4:5], off
	s_waitcnt vmcnt(0)
	v_cmp_neq_f16_e32 vcc_lo, 0, v4
	v_add_co_ci_u32_e32 v2, vcc_lo, 0, v2, vcc_lo
.LBB0_101:
	s_or_b32 exec_lo, exec_lo, s3
	s_delay_alu instid0(SALU_CYCLE_1) | instskip(NEXT) | instid1(SALU_CYCLE_1)
	s_or_b32 exec_lo, exec_lo, s2
	s_mov_b32 s2, exec_lo
	v_cmpx_gt_i32_e64 s17, v14
	s_cbranch_execz .LBB0_125
.LBB0_102:
	v_ashrrev_i32_e32 v6, 31, v14
	v_mul_lo_u32 v7, v14, s23
	v_mad_u64_u32 v[4:5], null, v14, s22, 0
	s_mov_b32 s3, exec_lo
	s_delay_alu instid0(VALU_DEP_3) | instskip(NEXT) | instid1(VALU_DEP_1)
	v_mul_lo_u32 v6, v6, s22
	v_add3_u32 v5, v5, v7, v6
	v_lshlrev_b64 v[6:7], 1, v[10:11]
	s_delay_alu instid0(VALU_DEP_2) | instskip(NEXT) | instid1(VALU_DEP_2)
	v_lshlrev_b64 v[4:5], 1, v[4:5]
	v_add_co_u32 v10, vcc_lo, s20, v6
	s_delay_alu instid0(VALU_DEP_3) | instskip(NEXT) | instid1(VALU_DEP_3)
	v_add_co_ci_u32_e32 v11, vcc_lo, s21, v7, vcc_lo
	v_add_co_u32 v4, vcc_lo, v9, v4
	s_delay_alu instid0(VALU_DEP_4)
	v_add_co_ci_u32_e32 v5, vcc_lo, v17, v5, vcc_lo
	v_cmpx_gt_i32_e64 s18, v8
	s_cbranch_execz .LBB0_106
; %bb.103:
	s_delay_alu instid0(VALU_DEP_2)
	v_dual_mov_b32 v7, v5 :: v_dual_mov_b32 v6, v4
	s_and_not1_b32 vcc_lo, exec_lo, s1
	s_cbranch_vccnz .LBB0_105
; %bb.104:
	v_mad_u64_u32 v[6:7], null, v8, s22, 0
	s_delay_alu instid0(VALU_DEP_1) | instskip(NEXT) | instid1(VALU_DEP_1)
	v_mad_u64_u32 v[14:15], null, v8, s23, v[7:8]
	v_mov_b32_e32 v7, v14
	s_delay_alu instid0(VALU_DEP_1) | instskip(NEXT) | instid1(VALU_DEP_1)
	v_lshlrev_b64 v[6:7], 1, v[6:7]
	v_add_co_u32 v6, vcc_lo, v10, v6
	s_delay_alu instid0(VALU_DEP_2) | instskip(NEXT) | instid1(VALU_DEP_2)
	v_add_co_ci_u32_e32 v7, vcc_lo, v11, v7, vcc_lo
	v_add_co_u32 v6, vcc_lo, 0x180, v6
	s_delay_alu instid0(VALU_DEP_2)
	v_add_co_ci_u32_e32 v7, vcc_lo, 0, v7, vcc_lo
.LBB0_105:
	global_load_u16 v6, v[6:7], off
	s_waitcnt vmcnt(0)
	v_cmp_neq_f16_e32 vcc_lo, 0, v6
	v_add_co_ci_u32_e32 v3, vcc_lo, 0, v3, vcc_lo
.LBB0_106:
	s_or_b32 exec_lo, exec_lo, s3
	v_or_b32_e32 v14, 1, v8
	v_cndmask_b32_e64 v9, 0, 1, s0
	s_mov_b32 s1, exec_lo
	s_delay_alu instid0(VALU_DEP_2)
	v_cmpx_gt_i32_e64 s18, v14
	s_cbranch_execz .LBB0_112
; %bb.107:
	s_and_not1_b32 vcc_lo, exec_lo, s0
	s_cbranch_vccnz .LBB0_109
; %bb.108:
	v_add_co_u32 v6, vcc_lo, v4, 2
	v_add_co_ci_u32_e32 v7, vcc_lo, 0, v5, vcc_lo
	s_cbranch_execz .LBB0_110
	s_branch .LBB0_111
.LBB0_109:
                                        ; implicit-def: $vgpr6_vgpr7
.LBB0_110:
	v_mad_u64_u32 v[6:7], null, v14, s22, 0
	s_delay_alu instid0(VALU_DEP_1) | instskip(NEXT) | instid1(VALU_DEP_1)
	v_mad_u64_u32 v[15:16], null, v14, s23, v[7:8]
	v_mov_b32_e32 v7, v15
	s_delay_alu instid0(VALU_DEP_1) | instskip(NEXT) | instid1(VALU_DEP_1)
	v_lshlrev_b64 v[6:7], 1, v[6:7]
	v_add_co_u32 v6, vcc_lo, v10, v6
	s_delay_alu instid0(VALU_DEP_2) | instskip(NEXT) | instid1(VALU_DEP_2)
	v_add_co_ci_u32_e32 v7, vcc_lo, v11, v7, vcc_lo
	v_add_co_u32 v6, vcc_lo, 0x180, v6
	s_delay_alu instid0(VALU_DEP_2)
	v_add_co_ci_u32_e32 v7, vcc_lo, 0, v7, vcc_lo
.LBB0_111:
	global_load_u16 v6, v[6:7], off
	s_waitcnt vmcnt(0)
	v_cmp_neq_f16_e32 vcc_lo, 0, v6
	v_add_co_ci_u32_e32 v3, vcc_lo, 0, v3, vcc_lo
.LBB0_112:
	s_or_b32 exec_lo, exec_lo, s1
	v_or_b32_e32 v14, 2, v8
	s_mov_b32 s0, exec_lo
	s_delay_alu instid0(VALU_DEP_1)
	v_cmpx_gt_i32_e64 s18, v14
	s_cbranch_execz .LBB0_118
; %bb.113:
	v_cmp_ne_u32_e32 vcc_lo, 1, v9
	s_cbranch_vccnz .LBB0_115
; %bb.114:
	v_add_co_u32 v6, vcc_lo, v4, 4
	v_add_co_ci_u32_e32 v7, vcc_lo, 0, v5, vcc_lo
	s_cbranch_execz .LBB0_116
	s_branch .LBB0_117
.LBB0_115:
                                        ; implicit-def: $vgpr6_vgpr7
.LBB0_116:
	v_mad_u64_u32 v[6:7], null, v14, s22, 0
	s_delay_alu instid0(VALU_DEP_1) | instskip(NEXT) | instid1(VALU_DEP_1)
	v_mad_u64_u32 v[15:16], null, v14, s23, v[7:8]
	v_mov_b32_e32 v7, v15
	s_delay_alu instid0(VALU_DEP_1) | instskip(NEXT) | instid1(VALU_DEP_1)
	v_lshlrev_b64 v[6:7], 1, v[6:7]
	v_add_co_u32 v6, vcc_lo, v10, v6
	s_delay_alu instid0(VALU_DEP_2) | instskip(NEXT) | instid1(VALU_DEP_2)
	v_add_co_ci_u32_e32 v7, vcc_lo, v11, v7, vcc_lo
	v_add_co_u32 v6, vcc_lo, 0x180, v6
	s_delay_alu instid0(VALU_DEP_2)
	v_add_co_ci_u32_e32 v7, vcc_lo, 0, v7, vcc_lo
.LBB0_117:
	global_load_u16 v6, v[6:7], off
	s_waitcnt vmcnt(0)
	v_cmp_neq_f16_e32 vcc_lo, 0, v6
	v_add_co_ci_u32_e32 v3, vcc_lo, 0, v3, vcc_lo
.LBB0_118:
	s_or_b32 exec_lo, exec_lo, s0
	v_or_b32_e32 v6, 3, v8
	s_mov_b32 s0, exec_lo
	s_delay_alu instid0(VALU_DEP_1)
	v_cmpx_gt_i32_e64 s18, v6
	s_cbranch_execz .LBB0_124
; %bb.119:
	v_cmp_ne_u32_e32 vcc_lo, 1, v9
	s_cbranch_vccnz .LBB0_121
; %bb.120:
	v_add_co_u32 v4, vcc_lo, v4, 6
	v_add_co_ci_u32_e32 v5, vcc_lo, 0, v5, vcc_lo
	s_cbranch_execz .LBB0_122
	s_branch .LBB0_123
.LBB0_121:
                                        ; implicit-def: $vgpr4_vgpr5
.LBB0_122:
	v_mad_u64_u32 v[4:5], null, v6, s22, 0
	s_delay_alu instid0(VALU_DEP_1) | instskip(NEXT) | instid1(VALU_DEP_1)
	v_mad_u64_u32 v[7:8], null, v6, s23, v[5:6]
	v_mov_b32_e32 v5, v7
	s_delay_alu instid0(VALU_DEP_1) | instskip(NEXT) | instid1(VALU_DEP_1)
	v_lshlrev_b64 v[4:5], 1, v[4:5]
	v_add_co_u32 v4, vcc_lo, v10, v4
	s_delay_alu instid0(VALU_DEP_2) | instskip(NEXT) | instid1(VALU_DEP_2)
	v_add_co_ci_u32_e32 v5, vcc_lo, v11, v5, vcc_lo
	v_add_co_u32 v4, vcc_lo, 0x180, v4
	s_delay_alu instid0(VALU_DEP_2)
	v_add_co_ci_u32_e32 v5, vcc_lo, 0, v5, vcc_lo
.LBB0_123:
	global_load_u16 v4, v[4:5], off
	s_waitcnt vmcnt(0)
	v_cmp_neq_f16_e32 vcc_lo, 0, v4
	v_add_co_ci_u32_e32 v3, vcc_lo, 0, v3, vcc_lo
.LBB0_124:
	s_or_b32 exec_lo, exec_lo, s0
.LBB0_125:
	s_delay_alu instid0(SALU_CYCLE_1)
	s_or_b32 exec_lo, exec_lo, s2
.LBB0_126:
	v_lshlrev_b32_e32 v4, 2, v12
	s_mov_b32 s0, exec_lo
	s_delay_alu instid0(VALU_DEP_1) | instskip(NEXT) | instid1(VALU_DEP_1)
	v_and_or_b32 v5, 0x1fffff00, v4, v13
	v_lshlrev_b32_e32 v5, 2, v5
	ds_store_2addr_stride64_b32 v5, v0, v1 offset1:1
	ds_store_2addr_stride64_b32 v5, v2, v3 offset0:2 offset1:3
	s_waitcnt lgkmcnt(0)
	s_barrier
	buffer_gl0_inv
	v_cmpx_gt_u32_e32 0x100, v12
	s_cbranch_execz .LBB0_129
; %bb.127:
	ds_load_2addr_stride64_b32 v[0:1], v4 offset1:4
	ds_load_2addr_stride64_b32 v[2:3], v4 offset0:8 offset1:12
	ds_load_2addr_stride64_b32 v[5:6], v4 offset0:16 offset1:20
	;; [unrolled: 1-line block ×3, first 2 shown]
	s_waitcnt lgkmcnt(3)
	v_add_nc_u32_e32 v9, v0, v1
	ds_load_2addr_stride64_b32 v[0:1], v4 offset0:32 offset1:36
	s_waitcnt lgkmcnt(3)
	v_add3_u32 v9, v9, v2, v3
	ds_load_2addr_stride64_b32 v[2:3], v4 offset0:40 offset1:44
	s_waitcnt lgkmcnt(3)
	v_add3_u32 v9, v9, v5, v6
	;; [unrolled: 3-line block ×4, first 2 shown]
	s_waitcnt lgkmcnt(2)
	s_delay_alu instid0(VALU_DEP_1) | instskip(SKIP_1) | instid1(VALU_DEP_1)
	v_add3_u32 v0, v0, v2, v3
	s_waitcnt lgkmcnt(1)
	v_add3_u32 v1, v0, v5, v6
	v_add_nc_u32_e32 v0, s5, v12
	s_waitcnt lgkmcnt(0)
	s_delay_alu instid0(VALU_DEP_2) | instskip(NEXT) | instid1(VALU_DEP_2)
	v_add3_u32 v2, v1, v7, v8
	v_cmp_gt_i32_e32 vcc_lo, s17, v0
	ds_store_b32 v4, v2
	s_and_b32 exec_lo, exec_lo, vcc_lo
	s_cbranch_execz .LBB0_129
; %bb.128:
	v_ashrrev_i32_e32 v1, 31, v0
	s_delay_alu instid0(VALU_DEP_1) | instskip(NEXT) | instid1(VALU_DEP_1)
	v_lshlrev_b64 v[0:1], 2, v[0:1]
	v_add_co_u32 v0, vcc_lo, s6, v0
	s_delay_alu instid0(VALU_DEP_2)
	v_add_co_ci_u32_e32 v1, vcc_lo, s7, v1, vcc_lo
	global_store_b32 v[0:1], v2, off
.LBB0_129:
	s_nop 0
	s_sendmsg sendmsg(MSG_DEALLOC_VGPRS)
	s_endpgm
	.section	.rodata,"a",@progbits
	.p2align	6, 0x0
	.amdhsa_kernel _ZN9rocsparseL14nnz_kernel_rowILi64ELi16EiiDF16_EEv16rocsparse_order_T2_S2_PKT3_lPT1_
		.amdhsa_group_segment_fixed_size 16384
		.amdhsa_private_segment_fixed_size 0
		.amdhsa_kernarg_size 296
		.amdhsa_user_sgpr_count 15
		.amdhsa_user_sgpr_dispatch_ptr 0
		.amdhsa_user_sgpr_queue_ptr 0
		.amdhsa_user_sgpr_kernarg_segment_ptr 1
		.amdhsa_user_sgpr_dispatch_id 0
		.amdhsa_user_sgpr_private_segment_size 0
		.amdhsa_wavefront_size32 1
		.amdhsa_uses_dynamic_stack 0
		.amdhsa_enable_private_segment 0
		.amdhsa_system_sgpr_workgroup_id_x 1
		.amdhsa_system_sgpr_workgroup_id_y 0
		.amdhsa_system_sgpr_workgroup_id_z 0
		.amdhsa_system_sgpr_workgroup_info 0
		.amdhsa_system_vgpr_workitem_id 1
		.amdhsa_next_free_vgpr 33
		.amdhsa_next_free_sgpr 24
		.amdhsa_reserve_vcc 1
		.amdhsa_float_round_mode_32 0
		.amdhsa_float_round_mode_16_64 0
		.amdhsa_float_denorm_mode_32 3
		.amdhsa_float_denorm_mode_16_64 3
		.amdhsa_dx10_clamp 1
		.amdhsa_ieee_mode 1
		.amdhsa_fp16_overflow 0
		.amdhsa_workgroup_processor_mode 1
		.amdhsa_memory_ordered 1
		.amdhsa_forward_progress 0
		.amdhsa_shared_vgpr_count 0
		.amdhsa_exception_fp_ieee_invalid_op 0
		.amdhsa_exception_fp_denorm_src 0
		.amdhsa_exception_fp_ieee_div_zero 0
		.amdhsa_exception_fp_ieee_overflow 0
		.amdhsa_exception_fp_ieee_underflow 0
		.amdhsa_exception_fp_ieee_inexact 0
		.amdhsa_exception_int_div_zero 0
	.end_amdhsa_kernel
	.section	.text._ZN9rocsparseL14nnz_kernel_rowILi64ELi16EiiDF16_EEv16rocsparse_order_T2_S2_PKT3_lPT1_,"axG",@progbits,_ZN9rocsparseL14nnz_kernel_rowILi64ELi16EiiDF16_EEv16rocsparse_order_T2_S2_PKT3_lPT1_,comdat
.Lfunc_end0:
	.size	_ZN9rocsparseL14nnz_kernel_rowILi64ELi16EiiDF16_EEv16rocsparse_order_T2_S2_PKT3_lPT1_, .Lfunc_end0-_ZN9rocsparseL14nnz_kernel_rowILi64ELi16EiiDF16_EEv16rocsparse_order_T2_S2_PKT3_lPT1_
                                        ; -- End function
	.section	.AMDGPU.csdata,"",@progbits
; Kernel info:
; codeLenInByte = 5392
; NumSgprs: 26
; NumVgprs: 33
; ScratchSize: 0
; MemoryBound: 0
; FloatMode: 240
; IeeeMode: 1
; LDSByteSize: 16384 bytes/workgroup (compile time only)
; SGPRBlocks: 3
; VGPRBlocks: 4
; NumSGPRsForWavesPerEU: 26
; NumVGPRsForWavesPerEU: 33
; Occupancy: 16
; WaveLimiterHint : 0
; COMPUTE_PGM_RSRC2:SCRATCH_EN: 0
; COMPUTE_PGM_RSRC2:USER_SGPR: 15
; COMPUTE_PGM_RSRC2:TRAP_HANDLER: 0
; COMPUTE_PGM_RSRC2:TGID_X_EN: 1
; COMPUTE_PGM_RSRC2:TGID_Y_EN: 0
; COMPUTE_PGM_RSRC2:TGID_Z_EN: 0
; COMPUTE_PGM_RSRC2:TIDIG_COMP_CNT: 1
	.section	.text._ZN9rocsparseL14nnz_kernel_colILi256EiiDF16_EEv16rocsparse_order_T1_S2_PKT2_lPT0_,"axG",@progbits,_ZN9rocsparseL14nnz_kernel_colILi256EiiDF16_EEv16rocsparse_order_T1_S2_PKT2_lPT0_,comdat
	.globl	_ZN9rocsparseL14nnz_kernel_colILi256EiiDF16_EEv16rocsparse_order_T1_S2_PKT2_lPT0_ ; -- Begin function _ZN9rocsparseL14nnz_kernel_colILi256EiiDF16_EEv16rocsparse_order_T1_S2_PKT2_lPT0_
	.p2align	8
	.type	_ZN9rocsparseL14nnz_kernel_colILi256EiiDF16_EEv16rocsparse_order_T1_S2_PKT2_lPT0_,@function
_ZN9rocsparseL14nnz_kernel_colILi256EiiDF16_EEv16rocsparse_order_T1_S2_PKT2_lPT0_: ; @_ZN9rocsparseL14nnz_kernel_colILi256EiiDF16_EEv16rocsparse_order_T1_S2_PKT2_lPT0_
; %bb.0:
	s_clause 0x1
	s_load_b64 s[8:9], s[0:1], 0x0
	s_load_b128 s[4:7], s[0:1], 0x10
	s_mov_b32 s2, s15
	s_waitcnt lgkmcnt(0)
	s_ashr_i32 s3, s9, 31
	s_delay_alu instid0(SALU_CYCLE_1) | instskip(NEXT) | instid1(SALU_CYCLE_1)
	s_lshr_b32 s3, s3, 24
	s_add_i32 s3, s9, s3
	s_delay_alu instid0(SALU_CYCLE_1)
	s_and_b32 s10, s3, 0xffffff00
	s_cmp_eq_u32 s8, 1
	s_cbranch_scc1 .LBB1_6
; %bb.1:
	v_mov_b32_e32 v5, 0
	s_cmpk_lt_i32 s9, 0x100
	s_cbranch_scc1 .LBB1_7
; %bb.2:
	v_mad_u64_u32 v[1:2], null, s6, v0, 0
	s_ashr_i32 s3, s2, 31
	v_mov_b32_e32 v5, 0
	s_lshl_b64 s[12:13], s[2:3], 1
	s_delay_alu instid0(SALU_CYCLE_1) | instskip(SKIP_1) | instid1(VALU_DEP_2)
	s_add_u32 s3, s4, s12
	s_addc_u32 s8, s5, s13
	v_mad_u64_u32 v[3:4], null, s7, v0, v[2:3]
	s_lshl_b64 s[12:13], s[6:7], 9
	s_delay_alu instid0(VALU_DEP_1) | instskip(NEXT) | instid1(VALU_DEP_1)
	v_mov_b32_e32 v2, v3
	v_lshlrev_b64 v[1:2], 1, v[1:2]
	s_delay_alu instid0(VALU_DEP_1) | instskip(NEXT) | instid1(VALU_DEP_2)
	v_add_co_u32 v1, vcc_lo, s3, v1
	v_add_co_ci_u32_e32 v2, vcc_lo, s8, v2, vcc_lo
	s_mov_b32 s3, 0
	s_branch .LBB1_4
	.p2align	6
.LBB1_3:                                ;   in Loop: Header=BB1_4 Depth=1
	s_or_b32 exec_lo, exec_lo, s8
	v_add_co_u32 v1, vcc_lo, v1, s12
	v_add_co_ci_u32_e32 v2, vcc_lo, s13, v2, vcc_lo
	s_addk_i32 s3, 0x100
	s_delay_alu instid0(SALU_CYCLE_1)
	s_cmp_ge_i32 s3, s10
	s_cbranch_scc1 .LBB1_7
.LBB1_4:                                ; =>This Inner Loop Header: Depth=1
	v_add_nc_u32_e32 v3, s3, v0
	s_mov_b32 s8, exec_lo
	s_delay_alu instid0(VALU_DEP_1)
	v_cmpx_gt_i32_e64 s9, v3
	s_cbranch_execz .LBB1_3
; %bb.5:                                ;   in Loop: Header=BB1_4 Depth=1
	global_load_u16 v3, v[1:2], off
	s_waitcnt vmcnt(0)
	v_cmp_neq_f16_e32 vcc_lo, 0, v3
	v_add_co_ci_u32_e32 v5, vcc_lo, 0, v5, vcc_lo
	s_branch .LBB1_3
.LBB1_6:
	s_mov_b32 s8, 0
                                        ; implicit-def: $vgpr5
                                        ; implicit-def: $vgpr1_vgpr2
	s_cbranch_execnz .LBB1_10
	s_branch .LBB1_16
.LBB1_7:
	v_add_nc_u32_e32 v3, s10, v0
	s_mov_b32 s11, 0
	s_mov_b32 s8, 0
                                        ; implicit-def: $vgpr1_vgpr2
	s_mov_b32 s3, exec_lo
	s_delay_alu instid0(VALU_DEP_1)
	v_cmpx_gt_i32_e64 s9, v3
	s_xor_b32 s12, exec_lo, s3
	s_cbranch_execz .LBB1_9
; %bb.8:
	v_ashrrev_i32_e32 v4, 31, v3
	v_mul_lo_u32 v6, v3, s7
	v_mad_u64_u32 v[1:2], null, v3, s6, 0
	s_ashr_i32 s3, s2, 31
	s_delay_alu instid0(VALU_DEP_3) | instskip(SKIP_4) | instid1(VALU_DEP_1)
	v_mul_lo_u32 v3, v4, s6
	s_lshl_b64 s[14:15], s[2:3], 1
	s_mov_b32 s8, exec_lo
	s_add_u32 s3, s14, s4
	s_addc_u32 s13, s15, s5
	v_add3_u32 v2, v2, v6, v3
	s_delay_alu instid0(VALU_DEP_1) | instskip(NEXT) | instid1(VALU_DEP_1)
	v_lshlrev_b64 v[1:2], 1, v[1:2]
	v_add_co_u32 v1, vcc_lo, s3, v1
	s_delay_alu instid0(VALU_DEP_2)
	v_add_co_ci_u32_e32 v2, vcc_lo, s13, v2, vcc_lo
.LBB1_9:
	s_or_b32 exec_lo, exec_lo, s12
	s_delay_alu instid0(SALU_CYCLE_1)
	s_and_b32 vcc_lo, exec_lo, s11
	s_cbranch_vccz .LBB1_16
.LBB1_10:
	v_cmp_gt_i32_e32 vcc_lo, s9, v0
	s_mul_i32 s3, s2, s7
	s_mul_hi_u32 s7, s2, s6
	s_ashr_i32 s11, s2, 31
	s_add_i32 s3, s7, s3
	v_cndmask_b32_e32 v1, 0, v0, vcc_lo
	s_mul_i32 s11, s11, s6
	s_mul_i32 s6, s2, s6
	s_add_i32 s7, s3, s11
	v_mov_b32_e32 v5, 0
	v_lshlrev_b32_e32 v1, 1, v1
	s_lshl_b64 s[6:7], s[6:7], 1
	s_delay_alu instid0(SALU_CYCLE_1) | instskip(SKIP_1) | instid1(VALU_DEP_1)
	s_add_u32 s3, s4, s6
	s_addc_u32 s4, s5, s7
	v_add_co_u32 v3, s3, s3, v1
	s_delay_alu instid0(VALU_DEP_1)
	v_add_co_ci_u32_e64 v4, null, s4, 0, s3
	s_cmpk_lt_i32 s9, 0x100
	s_mov_b32 s3, 0
	s_cbranch_scc1 .LBB1_13
; %bb.11:
	v_mov_b32_e32 v1, v3
	v_dual_mov_b32 v5, 0 :: v_dual_mov_b32 v2, v4
.LBB1_12:                               ; =>This Inner Loop Header: Depth=1
	global_load_u16 v6, v[1:2], off
	v_add_co_u32 v1, vcc_lo, 0x200, v1
	v_add_co_ci_u32_e32 v2, vcc_lo, 0, v2, vcc_lo
	s_addk_i32 s3, 0x100
	s_delay_alu instid0(SALU_CYCLE_1)
	s_cmp_ge_i32 s3, s10
	s_waitcnt vmcnt(0)
	v_cmp_neq_f16_e32 vcc_lo, 0, v6
	v_add_co_ci_u32_e32 v5, vcc_lo, 0, v5, vcc_lo
	s_cbranch_scc0 .LBB1_12
.LBB1_13:
	v_add_nc_u32_e32 v1, s10, v0
	s_delay_alu instid0(VALU_DEP_1)
	v_cmp_gt_i32_e32 vcc_lo, s9, v1
                                        ; implicit-def: $vgpr1_vgpr2
	s_and_saveexec_b32 s3, vcc_lo
; %bb.14:
	s_ashr_i32 s11, s10, 31
	s_or_b32 s8, s8, exec_lo
	s_lshl_b64 s[4:5], s[10:11], 1
	s_delay_alu instid0(SALU_CYCLE_1)
	v_add_co_u32 v1, vcc_lo, v3, s4
	v_add_co_ci_u32_e32 v2, vcc_lo, s5, v4, vcc_lo
; %bb.15:
	s_or_b32 exec_lo, exec_lo, s3
.LBB1_16:
	s_and_saveexec_b32 s3, s8
	s_cbranch_execz .LBB1_18
; %bb.17:
	global_load_u16 v1, v[1:2], off
	s_waitcnt vmcnt(0)
	v_cmp_neq_f16_e32 vcc_lo, 0, v1
	v_add_co_ci_u32_e32 v5, vcc_lo, 0, v5, vcc_lo
.LBB1_18:
	s_or_b32 exec_lo, exec_lo, s3
	v_lshlrev_b32_e32 v1, 2, v0
	v_cmp_eq_u32_e32 vcc_lo, 0, v0
	s_cmpk_lt_i32 s9, 0x100
	s_mov_b32 s3, -1
	ds_store_b32 v1, v5
	s_waitcnt lgkmcnt(0)
	s_cbranch_scc0 .LBB1_29
; %bb.19:
	s_cmp_gt_i32 s9, 1
	s_mov_b32 s5, 1
	s_cselect_b32 s3, -1, 0
	s_barrier
	s_and_b32 s4, vcc_lo, s3
	buffer_gl0_inv
	s_and_saveexec_b32 s3, s4
	s_cbranch_execz .LBB1_28
; %bb.20:
	v_mov_b32_e32 v2, 0
	s_add_i32 s6, s9, -2
	s_add_i32 s4, s9, -1
	s_cmp_lt_u32 s6, 7
	ds_load_b32 v2, v2
	s_cbranch_scc1 .LBB1_24
; %bb.21:
	s_and_b32 s5, s4, -8
	s_mov_b32 s7, 0
	s_mov_b32 s6, 4
	.p2align	6
.LBB1_22:                               ; =>This Inner Loop Header: Depth=1
	s_delay_alu instid0(SALU_CYCLE_1)
	v_mov_b32_e32 v9, s6
	s_mov_b32 s8, s7
	s_add_i32 s7, s7, 8
	s_add_i32 s6, s6, 32
	s_cmp_lg_u32 s5, s7
	ds_load_2addr_b32 v[3:4], v9 offset1:1
	ds_load_2addr_b32 v[5:6], v9 offset0:2 offset1:3
	ds_load_2addr_b32 v[7:8], v9 offset0:4 offset1:5
	;; [unrolled: 1-line block ×3, first 2 shown]
	s_waitcnt lgkmcnt(3)
	v_add_nc_u32_e32 v2, v2, v3
	s_delay_alu instid0(VALU_DEP_1) | instskip(SKIP_1) | instid1(VALU_DEP_1)
	v_add_nc_u32_e32 v2, v2, v4
	s_waitcnt lgkmcnt(2)
	v_add_nc_u32_e32 v2, v2, v5
	s_delay_alu instid0(VALU_DEP_1) | instskip(SKIP_1) | instid1(VALU_DEP_1)
	v_add_nc_u32_e32 v2, v2, v6
	;; [unrolled: 4-line block ×3, first 2 shown]
	s_waitcnt lgkmcnt(0)
	v_add_nc_u32_e32 v2, v2, v9
	s_delay_alu instid0(VALU_DEP_1)
	v_add_nc_u32_e32 v2, v2, v10
	s_cbranch_scc1 .LBB1_22
; %bb.23:
	s_add_i32 s5, s8, 9
.LBB1_24:
	s_and_b32 s4, s4, 7
	s_delay_alu instid0(SALU_CYCLE_1)
	s_cmp_eq_u32 s4, 0
	s_cbranch_scc1 .LBB1_27
; %bb.25:
	s_lshl_b32 s5, s5, 2
.LBB1_26:                               ; =>This Inner Loop Header: Depth=1
	s_delay_alu instid0(SALU_CYCLE_1)
	v_mov_b32_e32 v3, s5
	s_add_i32 s4, s4, -1
	s_add_i32 s5, s5, 4
	s_cmp_lg_u32 s4, 0
	ds_load_b32 v3, v3
	s_waitcnt lgkmcnt(0)
	v_add_nc_u32_e32 v2, v2, v3
	s_cbranch_scc1 .LBB1_26
.LBB1_27:
	v_mov_b32_e32 v3, 0
	s_waitcnt lgkmcnt(0)
	ds_store_b32 v3, v2
.LBB1_28:
	s_or_b32 exec_lo, exec_lo, s3
	s_mov_b32 s3, 0
	s_waitcnt lgkmcnt(0)
	s_barrier
.LBB1_29:
	s_and_b32 vcc_lo, exec_lo, s3
	s_cbranch_vccz .LBB1_47
; %bb.30:
	s_mov_b32 s3, exec_lo
	s_barrier
	buffer_gl0_inv
	v_cmpx_gt_u32_e32 0x80, v0
	s_cbranch_execz .LBB1_32
; %bb.31:
	ds_load_2addr_stride64_b32 v[2:3], v1 offset1:2
	s_waitcnt lgkmcnt(0)
	v_add_nc_u32_e32 v2, v2, v3
	ds_store_b32 v1, v2
.LBB1_32:
	s_or_b32 exec_lo, exec_lo, s3
	s_delay_alu instid0(SALU_CYCLE_1)
	s_mov_b32 s3, exec_lo
	s_waitcnt lgkmcnt(0)
	s_barrier
	buffer_gl0_inv
	v_cmpx_gt_u32_e32 64, v0
	s_cbranch_execz .LBB1_34
; %bb.33:
	ds_load_2addr_stride64_b32 v[2:3], v1 offset1:1
	s_waitcnt lgkmcnt(0)
	v_add_nc_u32_e32 v2, v2, v3
	ds_store_b32 v1, v2
.LBB1_34:
	s_or_b32 exec_lo, exec_lo, s3
	s_delay_alu instid0(SALU_CYCLE_1)
	s_mov_b32 s3, exec_lo
	s_waitcnt lgkmcnt(0)
	s_barrier
	buffer_gl0_inv
	v_cmpx_gt_u32_e32 32, v0
	s_cbranch_execz .LBB1_36
; %bb.35:
	ds_load_2addr_b32 v[2:3], v1 offset1:32
	s_waitcnt lgkmcnt(0)
	v_add_nc_u32_e32 v2, v2, v3
	ds_store_b32 v1, v2
.LBB1_36:
	s_or_b32 exec_lo, exec_lo, s3
	s_delay_alu instid0(SALU_CYCLE_1)
	s_mov_b32 s3, exec_lo
	s_waitcnt lgkmcnt(0)
	s_barrier
	buffer_gl0_inv
	v_cmpx_gt_u32_e32 16, v0
	s_cbranch_execz .LBB1_38
; %bb.37:
	ds_load_2addr_b32 v[2:3], v1 offset1:16
	s_waitcnt lgkmcnt(0)
	v_add_nc_u32_e32 v2, v2, v3
	ds_store_b32 v1, v2
.LBB1_38:
	;; [unrolled: 14-line block ×5, first 2 shown]
	s_or_b32 exec_lo, exec_lo, s3
	s_delay_alu instid0(SALU_CYCLE_1)
	s_mov_b32 s3, exec_lo
	s_waitcnt lgkmcnt(0)
	s_barrier
	buffer_gl0_inv
	v_cmpx_eq_u32_e32 0, v0
	s_cbranch_execz .LBB1_46
; %bb.45:
	v_mov_b32_e32 v3, 0
	ds_load_b64 v[1:2], v3
	s_waitcnt lgkmcnt(0)
	v_add_nc_u32_e32 v1, v1, v2
	ds_store_b32 v3, v1
.LBB1_46:
	s_or_b32 exec_lo, exec_lo, s3
	s_waitcnt lgkmcnt(0)
	s_barrier
.LBB1_47:
	buffer_gl0_inv
	s_mov_b32 s3, exec_lo
	v_cmpx_eq_u32_e32 0, v0
	s_cbranch_execz .LBB1_49
; %bb.48:
	v_mov_b32_e32 v0, 0
	s_load_b64 s[0:1], s[0:1], 0x20
	s_ashr_i32 s3, s2, 31
	s_delay_alu instid0(SALU_CYCLE_1)
	s_lshl_b64 s[2:3], s[2:3], 2
	ds_load_b32 v1, v0
	s_waitcnt lgkmcnt(0)
	s_add_u32 s0, s0, s2
	s_addc_u32 s1, s1, s3
	global_store_b32 v0, v1, s[0:1]
.LBB1_49:
	s_nop 0
	s_sendmsg sendmsg(MSG_DEALLOC_VGPRS)
	s_endpgm
	.section	.rodata,"a",@progbits
	.p2align	6, 0x0
	.amdhsa_kernel _ZN9rocsparseL14nnz_kernel_colILi256EiiDF16_EEv16rocsparse_order_T1_S2_PKT2_lPT0_
		.amdhsa_group_segment_fixed_size 1024
		.amdhsa_private_segment_fixed_size 0
		.amdhsa_kernarg_size 40
		.amdhsa_user_sgpr_count 15
		.amdhsa_user_sgpr_dispatch_ptr 0
		.amdhsa_user_sgpr_queue_ptr 0
		.amdhsa_user_sgpr_kernarg_segment_ptr 1
		.amdhsa_user_sgpr_dispatch_id 0
		.amdhsa_user_sgpr_private_segment_size 0
		.amdhsa_wavefront_size32 1
		.amdhsa_uses_dynamic_stack 0
		.amdhsa_enable_private_segment 0
		.amdhsa_system_sgpr_workgroup_id_x 1
		.amdhsa_system_sgpr_workgroup_id_y 0
		.amdhsa_system_sgpr_workgroup_id_z 0
		.amdhsa_system_sgpr_workgroup_info 0
		.amdhsa_system_vgpr_workitem_id 0
		.amdhsa_next_free_vgpr 11
		.amdhsa_next_free_sgpr 16
		.amdhsa_reserve_vcc 1
		.amdhsa_float_round_mode_32 0
		.amdhsa_float_round_mode_16_64 0
		.amdhsa_float_denorm_mode_32 3
		.amdhsa_float_denorm_mode_16_64 3
		.amdhsa_dx10_clamp 1
		.amdhsa_ieee_mode 1
		.amdhsa_fp16_overflow 0
		.amdhsa_workgroup_processor_mode 1
		.amdhsa_memory_ordered 1
		.amdhsa_forward_progress 0
		.amdhsa_shared_vgpr_count 0
		.amdhsa_exception_fp_ieee_invalid_op 0
		.amdhsa_exception_fp_denorm_src 0
		.amdhsa_exception_fp_ieee_div_zero 0
		.amdhsa_exception_fp_ieee_overflow 0
		.amdhsa_exception_fp_ieee_underflow 0
		.amdhsa_exception_fp_ieee_inexact 0
		.amdhsa_exception_int_div_zero 0
	.end_amdhsa_kernel
	.section	.text._ZN9rocsparseL14nnz_kernel_colILi256EiiDF16_EEv16rocsparse_order_T1_S2_PKT2_lPT0_,"axG",@progbits,_ZN9rocsparseL14nnz_kernel_colILi256EiiDF16_EEv16rocsparse_order_T1_S2_PKT2_lPT0_,comdat
.Lfunc_end1:
	.size	_ZN9rocsparseL14nnz_kernel_colILi256EiiDF16_EEv16rocsparse_order_T1_S2_PKT2_lPT0_, .Lfunc_end1-_ZN9rocsparseL14nnz_kernel_colILi256EiiDF16_EEv16rocsparse_order_T1_S2_PKT2_lPT0_
                                        ; -- End function
	.section	.AMDGPU.csdata,"",@progbits
; Kernel info:
; codeLenInByte = 1536
; NumSgprs: 18
; NumVgprs: 11
; ScratchSize: 0
; MemoryBound: 0
; FloatMode: 240
; IeeeMode: 1
; LDSByteSize: 1024 bytes/workgroup (compile time only)
; SGPRBlocks: 2
; VGPRBlocks: 1
; NumSGPRsForWavesPerEU: 18
; NumVGPRsForWavesPerEU: 11
; Occupancy: 16
; WaveLimiterHint : 0
; COMPUTE_PGM_RSRC2:SCRATCH_EN: 0
; COMPUTE_PGM_RSRC2:USER_SGPR: 15
; COMPUTE_PGM_RSRC2:TRAP_HANDLER: 0
; COMPUTE_PGM_RSRC2:TGID_X_EN: 1
; COMPUTE_PGM_RSRC2:TGID_Y_EN: 0
; COMPUTE_PGM_RSRC2:TGID_Z_EN: 0
; COMPUTE_PGM_RSRC2:TIDIG_COMP_CNT: 0
	.section	.text._ZN9rocsparseL14nnz_kernel_rowILi64ELi16Eii18rocsparse_bfloat16EEv16rocsparse_order_T2_S3_PKT3_lPT1_,"axG",@progbits,_ZN9rocsparseL14nnz_kernel_rowILi64ELi16Eii18rocsparse_bfloat16EEv16rocsparse_order_T2_S3_PKT3_lPT1_,comdat
	.globl	_ZN9rocsparseL14nnz_kernel_rowILi64ELi16Eii18rocsparse_bfloat16EEv16rocsparse_order_T2_S3_PKT3_lPT1_ ; -- Begin function _ZN9rocsparseL14nnz_kernel_rowILi64ELi16Eii18rocsparse_bfloat16EEv16rocsparse_order_T2_S3_PKT3_lPT1_
	.p2align	8
	.type	_ZN9rocsparseL14nnz_kernel_rowILi64ELi16Eii18rocsparse_bfloat16EEv16rocsparse_order_T2_S3_PKT3_lPT1_,@function
_ZN9rocsparseL14nnz_kernel_rowILi64ELi16Eii18rocsparse_bfloat16EEv16rocsparse_order_T2_S3_PKT3_lPT1_: ; @_ZN9rocsparseL14nnz_kernel_rowILi64ELi16Eii18rocsparse_bfloat16EEv16rocsparse_order_T2_S3_PKT3_lPT1_
; %bb.0:
	s_clause 0x1
	s_load_b32 s2, s[0:1], 0x34
	s_load_b256 s[16:23], s[0:1], 0x0
	s_mov_b32 s8, 0
	s_load_b64 s[6:7], s[0:1], 0x20
	s_mov_b32 s9, s8
	s_mov_b32 s10, s8
	;; [unrolled: 1-line block ×3, first 2 shown]
	v_and_b32_e32 v1, 0x3ff, v0
	v_bfe_u32 v0, v0, 10, 10
	s_lshl_b32 s5, s15, 8
	s_mov_b32 s13, exec_lo
	s_waitcnt lgkmcnt(0)
	s_and_b32 s2, s2, 0xffff
	s_ashr_i32 s0, s18, 31
	v_mad_u32_u24 v12, v0, s2, v1
	s_lshr_b32 s0, s0, 26
	s_delay_alu instid0(SALU_CYCLE_1) | instskip(NEXT) | instid1(VALU_DEP_1)
	s_add_i32 s12, s18, s0
	v_lshrrev_b32_e32 v0, 4, v12
	v_and_b32_e32 v13, 63, v12
	s_and_not1_b32 s12, s12, 63
	s_delay_alu instid0(VALU_DEP_2) | instskip(SKIP_1) | instid1(VALU_DEP_3)
	v_and_b32_e32 v8, 0x7ffffc, v0
	v_dual_mov_b32 v0, s8 :: v_dual_mov_b32 v1, s9
	v_or_b32_e32 v10, s5, v13
	v_dual_mov_b32 v2, s10 :: v_dual_mov_b32 v3, s11
	s_delay_alu instid0(VALU_DEP_2)
	v_or_b32_e32 v16, 64, v10
	v_or_b32_e32 v15, 0x80, v10
	;; [unrolled: 1-line block ×3, first 2 shown]
	v_cmpx_gt_i32_e64 s12, v8
	s_cbranch_execz .LBB2_28
; %bb.1:
	v_lshrrev_b32_e32 v27, 6, v12
	v_cmp_gt_i32_e64 s0, s17, v10
	v_cmp_gt_i32_e64 s1, s17, v16
	;; [unrolled: 1-line block ×4, first 2 shown]
	v_lshlrev_b32_e32 v28, 2, v27
	s_cmp_lg_u32 s16, 1
	s_delay_alu instid0(VALU_DEP_1) | instskip(SKIP_1) | instid1(VALU_DEP_2)
	v_or_b32_e32 v9, 3, v28
	v_or_b32_e32 v31, 2, v28
	v_mad_u64_u32 v[4:5], null, s22, v9, 0
	v_add_nc_u32_e32 v0, s5, v13
	s_delay_alu instid0(VALU_DEP_3) | instskip(NEXT) | instid1(VALU_DEP_2)
	v_mad_u64_u32 v[21:22], null, s22, v31, 0
	v_ashrrev_i32_e32 v1, 31, v0
	s_delay_alu instid0(VALU_DEP_1)
	v_mul_lo_u32 v24, s22, v1
	v_lshlrev_b64 v[6:7], 1, v[0:1]
	v_mov_b32_e32 v1, v5
	v_mul_lo_u32 v11, s23, v0
	v_mad_u64_u32 v[2:3], null, s22, v0, 0
	v_add_nc_u32_e32 v23, 64, v0
	s_delay_alu instid0(VALU_DEP_1) | instskip(NEXT) | instid1(VALU_DEP_3)
	v_ashrrev_i32_e32 v25, 31, v23
	v_add3_u32 v3, v3, v24, v11
	v_mul_lo_u32 v26, s23, v23
	v_mad_u64_u32 v[17:18], null, s23, v9, v[1:2]
	v_mad_u64_u32 v[19:20], null, s22, v23, 0
	v_mul_lo_u32 v9, s22, v25
	v_lshlrev_b64 v[2:3], 1, v[2:3]
	v_dual_mov_b32 v1, v22 :: v_dual_add_nc_u32 v30, 0x80, v0
	v_mov_b32_e32 v5, v17
	v_mad_u64_u32 v[23:24], null, s22, v28, s[22:23]
	v_add3_u32 v20, v20, v9, v26
	s_delay_alu instid0(VALU_DEP_4)
	v_mad_u64_u32 v[25:26], null, s23, v31, v[1:2]
	v_lshlrev_b32_e32 v29, 3, v27
	v_lshlrev_b64 v[4:5], 1, v[4:5]
	v_ashrrev_i32_e32 v32, 31, v30
	v_mul_lo_u32 v31, s23, v30
	v_mov_b32_e32 v22, v25
	v_add_co_u32 v9, vcc_lo, v2, v29
	v_add_co_ci_u32_e32 v11, vcc_lo, 0, v3, vcc_lo
	v_add_co_u32 v17, vcc_lo, v4, v6
	v_add_co_ci_u32_e32 v18, vcc_lo, v5, v7, vcc_lo
	v_lshlrev_b64 v[1:2], 1, v[19:20]
	v_mad_u64_u32 v[4:5], null, s22, v30, 0
	v_mul_lo_u32 v26, s22, v32
	v_mov_b32_e32 v3, v24
	s_delay_alu instid0(VALU_DEP_4) | instskip(SKIP_1) | instid1(VALU_DEP_3)
	v_add_co_u32 v19, vcc_lo, v1, v29
	v_add_co_ci_u32_e32 v20, vcc_lo, 0, v2, vcc_lo
	v_mad_u64_u32 v[24:25], null, s23, v28, v[3:4]
	v_add_nc_u32_e32 v28, 0xc0, v0
	v_lshlrev_b64 v[2:3], 1, v[21:22]
	v_add3_u32 v5, v5, v26, v31
	v_mad_u64_u32 v[0:1], null, s22, v27, 0
	s_delay_alu instid0(VALU_DEP_4)
	v_ashrrev_i32_e32 v25, 31, v28
	v_mul_lo_u32 v31, s23, v28
	v_add_co_u32 v21, vcc_lo, v2, v6
	v_add_co_ci_u32_e32 v22, vcc_lo, v3, v7, vcc_lo
	v_lshlrev_b64 v[2:3], 1, v[4:5]
	v_mul_lo_u32 v30, s22, v25
	v_mad_u64_u32 v[25:26], null, s22, v28, 0
	s_delay_alu instid0(VALU_DEP_3) | instskip(SKIP_2) | instid1(VALU_DEP_4)
	v_mad_u64_u32 v[4:5], null, s23, v27, v[1:2]
	v_lshlrev_b64 v[27:28], 1, v[23:24]
	v_add_co_u32 v23, vcc_lo, v2, v29
	v_add3_u32 v26, v26, v30, v31
	v_add_co_ci_u32_e32 v24, vcc_lo, 0, v3, vcc_lo
	v_mov_b32_e32 v1, v4
	s_delay_alu instid0(VALU_DEP_3) | instskip(SKIP_1) | instid1(VALU_DEP_3)
	v_lshlrev_b64 v[2:3], 1, v[25:26]
	v_add_co_u32 v25, vcc_lo, v27, v6
	v_lshlrev_b64 v[0:1], 3, v[0:1]
	v_add_co_ci_u32_e32 v26, vcc_lo, v28, v7, vcc_lo
	s_delay_alu instid0(VALU_DEP_4) | instskip(SKIP_1) | instid1(VALU_DEP_4)
	v_add_co_u32 v27, vcc_lo, v2, v29
	v_add_co_ci_u32_e32 v28, vcc_lo, 0, v3, vcc_lo
	v_add_co_u32 v29, vcc_lo, v0, v6
	v_add_co_ci_u32_e32 v30, vcc_lo, v1, v7, vcc_lo
	v_mov_b32_e32 v0, s8
	v_dual_mov_b32 v2, s10 :: v_dual_mov_b32 v1, s9
	v_mov_b32_e32 v3, s11
	s_cselect_b32 s9, -1, 0
	s_lshl_b64 s[10:11], s[22:23], 7
	s_branch .LBB2_4
.LBB2_2:                                ;   in Loop: Header=BB2_4 Depth=1
	s_delay_alu instid0(VALU_DEP_1) | instskip(NEXT) | instid1(VALU_DEP_2)
	v_dual_mov_b32 v0, v4 :: v_dual_mov_b32 v1, v5
	v_dual_mov_b32 v2, v6 :: v_dual_mov_b32 v3, v7
.LBB2_3:                                ;   in Loop: Header=BB2_4 Depth=1
	s_or_b32 exec_lo, exec_lo, s4
	v_add_co_u32 v9, vcc_lo, 0x80, v9
	v_add_co_ci_u32_e32 v11, vcc_lo, 0, v11, vcc_lo
	v_add_co_u32 v17, vcc_lo, v17, s10
	v_add_co_ci_u32_e32 v18, vcc_lo, s11, v18, vcc_lo
	;; [unrolled: 2-line block ×5, first 2 shown]
	v_add_co_u32 v25, vcc_lo, v25, s10
	v_add_nc_u32_e32 v8, 64, v8
	v_add_co_ci_u32_e32 v26, vcc_lo, s11, v26, vcc_lo
	v_add_co_u32 v27, vcc_lo, 0x80, v27
	v_add_co_ci_u32_e32 v28, vcc_lo, 0, v28, vcc_lo
	s_delay_alu instid0(VALU_DEP_4) | instskip(SKIP_1) | instid1(VALU_DEP_1)
	v_cmp_le_i32_e32 vcc_lo, s12, v8
	v_add_co_u32 v29, s4, v29, s10
	v_add_co_ci_u32_e64 v30, s4, s11, v30, s4
	s_or_b32 s8, vcc_lo, s8
	s_delay_alu instid0(SALU_CYCLE_1)
	s_and_not1_b32 exec_lo, exec_lo, s8
	s_cbranch_execz .LBB2_27
.LBB2_4:                                ; =>This Inner Loop Header: Depth=1
	s_and_saveexec_b32 s4, s0
	s_cbranch_execnz .LBB2_8
; %bb.5:                                ;   in Loop: Header=BB2_4 Depth=1
	s_or_b32 exec_lo, exec_lo, s4
	s_and_saveexec_b32 s4, s1
	s_cbranch_execnz .LBB2_13
.LBB2_6:                                ;   in Loop: Header=BB2_4 Depth=1
	s_or_b32 exec_lo, exec_lo, s4
	s_and_saveexec_b32 s4, s2
	s_cbranch_execnz .LBB2_18
.LBB2_7:                                ;   in Loop: Header=BB2_4 Depth=1
	s_or_b32 exec_lo, exec_lo, s4
	s_and_saveexec_b32 s4, s3
	s_cbranch_execz .LBB2_3
	s_branch .LBB2_23
.LBB2_8:                                ;   in Loop: Header=BB2_4 Depth=1
	v_add_nc_u32_e32 v31, 1, v0
	s_and_not1_b32 vcc_lo, exec_lo, s9
	s_cbranch_vccnz .LBB2_10
; %bb.9:                                ;   in Loop: Header=BB2_4 Depth=1
	v_add_co_u32 v4, vcc_lo, s20, v9
	v_add_co_ci_u32_e32 v5, vcc_lo, s21, v11, vcc_lo
	global_load_b64 v[4:5], v[4:5], off
	s_waitcnt vmcnt(0)
	v_and_b32_e32 v6, 0x7fff, v4
	v_lshrrev_b32_e32 v4, 16, v4
	s_delay_alu instid0(VALU_DEP_2) | instskip(NEXT) | instid1(VALU_DEP_2)
	v_cmp_eq_u16_e32 vcc_lo, 0, v6
	v_and_b32_e32 v4, 0x7fff, v4
	v_cndmask_b32_e32 v6, v31, v0, vcc_lo
	s_delay_alu instid0(VALU_DEP_2) | instskip(NEXT) | instid1(VALU_DEP_2)
	v_cmp_eq_u16_e32 vcc_lo, 0, v4
	v_add_nc_u32_e32 v7, 1, v6
	s_delay_alu instid0(VALU_DEP_1) | instskip(SKIP_2) | instid1(VALU_DEP_3)
	v_cndmask_b32_e32 v4, v7, v6, vcc_lo
	v_and_b32_e32 v6, 0x7fff, v5
	v_lshrrev_b32_e32 v5, 16, v5
	v_add_nc_u32_e32 v7, 1, v4
	s_delay_alu instid0(VALU_DEP_3) | instskip(SKIP_1) | instid1(VALU_DEP_3)
	v_cmp_eq_u16_e32 vcc_lo, 0, v6
	v_mov_b32_e32 v6, v2
	v_dual_cndmask_b32 v4, v7, v4 :: v_dual_and_b32 v7, 0x7fff, v5
	s_delay_alu instid0(VALU_DEP_1) | instskip(NEXT) | instid1(VALU_DEP_2)
	v_dual_mov_b32 v5, v1 :: v_dual_add_nc_u32 v32, 1, v4
	v_cmp_eq_u16_e32 vcc_lo, 0, v7
	s_delay_alu instid0(VALU_DEP_2)
	v_dual_mov_b32 v7, v3 :: v_dual_cndmask_b32 v4, v32, v4
	s_cbranch_execz .LBB2_11
	s_branch .LBB2_12
.LBB2_10:                               ;   in Loop: Header=BB2_4 Depth=1
                                        ; implicit-def: $vgpr4_vgpr5_vgpr6_vgpr7
.LBB2_11:                               ;   in Loop: Header=BB2_4 Depth=1
	v_add_co_u32 v4, vcc_lo, s20, v29
	v_add_co_ci_u32_e32 v5, vcc_lo, s21, v30, vcc_lo
	global_load_u16 v6, v[4:5], off
	v_add_co_u32 v4, vcc_lo, s20, v25
	v_add_co_ci_u32_e32 v5, vcc_lo, s21, v26, vcc_lo
	global_load_u16 v7, v[4:5], off
	;; [unrolled: 3-line block ×4, first 2 shown]
	s_waitcnt vmcnt(3)
	v_and_b32_e32 v5, 0x7fff, v6
	s_delay_alu instid0(VALU_DEP_1) | instskip(SKIP_1) | instid1(VALU_DEP_1)
	v_cmp_eq_u16_e32 vcc_lo, 0, v5
	v_cndmask_b32_e32 v0, v31, v0, vcc_lo
	v_add_nc_u32_e32 v6, 1, v0
	s_waitcnt vmcnt(2)
	v_and_b32_e32 v5, 0x7fff, v7
	s_delay_alu instid0(VALU_DEP_1)
	v_cmp_eq_u16_e32 vcc_lo, 0, v5
	s_waitcnt vmcnt(1)
	v_and_b32_e32 v5, 0x7fff, v32
	s_waitcnt vmcnt(0)
	v_and_b32_e32 v4, 0x7fff, v4
	v_cndmask_b32_e32 v0, v6, v0, vcc_lo
	s_delay_alu instid0(VALU_DEP_3) | instskip(NEXT) | instid1(VALU_DEP_2)
	v_cmp_eq_u16_e32 vcc_lo, 0, v5
	v_add_nc_u32_e32 v6, 1, v0
	s_delay_alu instid0(VALU_DEP_1) | instskip(SKIP_1) | instid1(VALU_DEP_2)
	v_cndmask_b32_e32 v0, v6, v0, vcc_lo
	v_cmp_eq_u16_e32 vcc_lo, 0, v4
	v_add_nc_u32_e32 v5, 1, v0
	s_delay_alu instid0(VALU_DEP_1) | instskip(SKIP_1) | instid1(VALU_DEP_2)
	v_cndmask_b32_e32 v0, v5, v0, vcc_lo
	v_dual_mov_b32 v7, v3 :: v_dual_mov_b32 v6, v2
	v_dual_mov_b32 v5, v1 :: v_dual_mov_b32 v4, v0
.LBB2_12:                               ;   in Loop: Header=BB2_4 Depth=1
	s_delay_alu instid0(VALU_DEP_1) | instskip(NEXT) | instid1(VALU_DEP_2)
	v_dual_mov_b32 v0, v4 :: v_dual_mov_b32 v1, v5
	v_dual_mov_b32 v2, v6 :: v_dual_mov_b32 v3, v7
	s_or_b32 exec_lo, exec_lo, s4
	s_and_saveexec_b32 s4, s1
	s_cbranch_execz .LBB2_6
.LBB2_13:                               ;   in Loop: Header=BB2_4 Depth=1
	v_add_nc_u32_e32 v31, 1, v1
	s_and_not1_b32 vcc_lo, exec_lo, s9
	s_cbranch_vccnz .LBB2_15
; %bb.14:                               ;   in Loop: Header=BB2_4 Depth=1
	v_add_co_u32 v4, vcc_lo, s20, v19
	v_add_co_ci_u32_e32 v5, vcc_lo, s21, v20, vcc_lo
	global_load_b64 v[4:5], v[4:5], off
	s_waitcnt vmcnt(0)
	v_and_b32_e32 v6, 0x7fff, v4
	v_lshrrev_b32_e32 v4, 16, v4
	s_delay_alu instid0(VALU_DEP_2) | instskip(NEXT) | instid1(VALU_DEP_2)
	v_cmp_eq_u16_e32 vcc_lo, 0, v6
	v_and_b32_e32 v4, 0x7fff, v4
	v_cndmask_b32_e32 v6, v31, v1, vcc_lo
	s_delay_alu instid0(VALU_DEP_2) | instskip(NEXT) | instid1(VALU_DEP_2)
	v_cmp_eq_u16_e32 vcc_lo, 0, v4
	v_add_nc_u32_e32 v7, 1, v6
	s_delay_alu instid0(VALU_DEP_1) | instskip(SKIP_2) | instid1(VALU_DEP_2)
	v_cndmask_b32_e32 v4, v7, v6, vcc_lo
	v_and_b32_e32 v6, 0x7fff, v5
	v_lshrrev_b32_e32 v5, 16, v5
	v_cmp_eq_u16_e32 vcc_lo, 0, v6
	s_delay_alu instid0(VALU_DEP_2) | instskip(SKIP_1) | instid1(VALU_DEP_1)
	v_and_b32_e32 v5, 0x7fff, v5
	v_dual_mov_b32 v6, v2 :: v_dual_add_nc_u32 v7, 1, v4
	v_cndmask_b32_e32 v7, v7, v4, vcc_lo
	s_delay_alu instid0(VALU_DEP_3) | instskip(SKIP_1) | instid1(VALU_DEP_3)
	v_cmp_eq_u16_e32 vcc_lo, 0, v5
	v_mov_b32_e32 v4, v0
	v_add_nc_u32_e32 v32, 1, v7
	s_delay_alu instid0(VALU_DEP_1)
	v_cndmask_b32_e32 v5, v32, v7, vcc_lo
	v_mov_b32_e32 v7, v3
	s_cbranch_execz .LBB2_16
	s_branch .LBB2_17
.LBB2_15:                               ;   in Loop: Header=BB2_4 Depth=1
                                        ; implicit-def: $vgpr4_vgpr5_vgpr6_vgpr7
.LBB2_16:                               ;   in Loop: Header=BB2_4 Depth=1
	v_add_co_u32 v4, vcc_lo, s20, v29
	v_add_co_ci_u32_e32 v5, vcc_lo, s21, v30, vcc_lo
	global_load_u16 v6, v[4:5], off offset:128
	v_add_co_u32 v4, vcc_lo, s20, v25
	v_add_co_ci_u32_e32 v5, vcc_lo, s21, v26, vcc_lo
	global_load_u16 v7, v[4:5], off offset:128
	;; [unrolled: 3-line block ×4, first 2 shown]
	s_waitcnt vmcnt(3)
	v_and_b32_e32 v5, 0x7fff, v6
	s_delay_alu instid0(VALU_DEP_1) | instskip(SKIP_3) | instid1(VALU_DEP_2)
	v_cmp_eq_u16_e32 vcc_lo, 0, v5
	s_waitcnt vmcnt(2)
	v_and_b32_e32 v5, 0x7fff, v7
	v_cndmask_b32_e32 v1, v31, v1, vcc_lo
	v_cmp_eq_u16_e32 vcc_lo, 0, v5
	s_waitcnt vmcnt(1)
	v_and_b32_e32 v5, 0x7fff, v32
	s_waitcnt vmcnt(0)
	v_and_b32_e32 v4, 0x7fff, v4
	v_add_nc_u32_e32 v6, 1, v1
	s_delay_alu instid0(VALU_DEP_1) | instskip(SKIP_1) | instid1(VALU_DEP_2)
	v_cndmask_b32_e32 v1, v6, v1, vcc_lo
	v_cmp_eq_u16_e32 vcc_lo, 0, v5
	v_add_nc_u32_e32 v6, 1, v1
	s_delay_alu instid0(VALU_DEP_1) | instskip(SKIP_1) | instid1(VALU_DEP_2)
	v_cndmask_b32_e32 v1, v6, v1, vcc_lo
	v_cmp_eq_u16_e32 vcc_lo, 0, v4
	v_add_nc_u32_e32 v5, 1, v1
	s_delay_alu instid0(VALU_DEP_1) | instskip(SKIP_1) | instid1(VALU_DEP_2)
	v_cndmask_b32_e32 v1, v5, v1, vcc_lo
	v_dual_mov_b32 v7, v3 :: v_dual_mov_b32 v6, v2
	v_dual_mov_b32 v4, v0 :: v_dual_mov_b32 v5, v1
.LBB2_17:                               ;   in Loop: Header=BB2_4 Depth=1
	s_delay_alu instid0(VALU_DEP_1) | instskip(NEXT) | instid1(VALU_DEP_2)
	v_dual_mov_b32 v0, v4 :: v_dual_mov_b32 v1, v5
	v_dual_mov_b32 v2, v6 :: v_dual_mov_b32 v3, v7
	s_or_b32 exec_lo, exec_lo, s4
	s_and_saveexec_b32 s4, s2
	s_cbranch_execz .LBB2_7
.LBB2_18:                               ;   in Loop: Header=BB2_4 Depth=1
	s_delay_alu instid0(VALU_DEP_1)
	v_add_nc_u32_e32 v31, 1, v2
	s_and_not1_b32 vcc_lo, exec_lo, s9
	s_cbranch_vccnz .LBB2_20
; %bb.19:                               ;   in Loop: Header=BB2_4 Depth=1
	v_add_co_u32 v4, vcc_lo, s20, v23
	v_add_co_ci_u32_e32 v5, vcc_lo, s21, v24, vcc_lo
	global_load_b64 v[4:5], v[4:5], off
	s_waitcnt vmcnt(0)
	v_and_b32_e32 v6, 0x7fff, v4
	v_lshrrev_b32_e32 v4, 16, v4
	s_delay_alu instid0(VALU_DEP_2) | instskip(NEXT) | instid1(VALU_DEP_2)
	v_cmp_eq_u16_e32 vcc_lo, 0, v6
	v_and_b32_e32 v4, 0x7fff, v4
	v_cndmask_b32_e32 v6, v31, v2, vcc_lo
	s_delay_alu instid0(VALU_DEP_2) | instskip(NEXT) | instid1(VALU_DEP_2)
	v_cmp_eq_u16_e32 vcc_lo, 0, v4
	v_add_nc_u32_e32 v7, 1, v6
	s_delay_alu instid0(VALU_DEP_1) | instskip(SKIP_2) | instid1(VALU_DEP_3)
	v_cndmask_b32_e32 v4, v7, v6, vcc_lo
	v_and_b32_e32 v6, 0x7fff, v5
	v_lshrrev_b32_e32 v5, 16, v5
	v_add_nc_u32_e32 v7, 1, v4
	s_delay_alu instid0(VALU_DEP_3) | instskip(NEXT) | instid1(VALU_DEP_2)
	v_cmp_eq_u16_e32 vcc_lo, 0, v6
	v_dual_cndmask_b32 v6, v7, v4 :: v_dual_and_b32 v7, 0x7fff, v5
	v_dual_mov_b32 v4, v0 :: v_dual_mov_b32 v5, v1
	s_delay_alu instid0(VALU_DEP_2) | instskip(NEXT) | instid1(VALU_DEP_3)
	v_add_nc_u32_e32 v32, 1, v6
	v_cmp_eq_u16_e32 vcc_lo, 0, v7
	s_delay_alu instid0(VALU_DEP_2)
	v_dual_mov_b32 v7, v3 :: v_dual_cndmask_b32 v6, v32, v6
	s_cbranch_execz .LBB2_21
	s_branch .LBB2_22
.LBB2_20:                               ;   in Loop: Header=BB2_4 Depth=1
                                        ; implicit-def: $vgpr4_vgpr5_vgpr6_vgpr7
.LBB2_21:                               ;   in Loop: Header=BB2_4 Depth=1
	v_add_co_u32 v4, vcc_lo, s20, v29
	v_add_co_ci_u32_e32 v5, vcc_lo, s21, v30, vcc_lo
	global_load_u16 v6, v[4:5], off offset:256
	v_add_co_u32 v4, vcc_lo, s20, v25
	v_add_co_ci_u32_e32 v5, vcc_lo, s21, v26, vcc_lo
	global_load_u16 v7, v[4:5], off offset:256
	;; [unrolled: 3-line block ×4, first 2 shown]
	s_waitcnt vmcnt(3)
	v_and_b32_e32 v5, 0x7fff, v6
	s_delay_alu instid0(VALU_DEP_1) | instskip(SKIP_2) | instid1(VALU_DEP_1)
	v_cmp_eq_u16_e32 vcc_lo, 0, v5
	s_waitcnt vmcnt(2)
	v_dual_cndmask_b32 v2, v31, v2 :: v_dual_and_b32 v5, 0x7fff, v7
	v_cmp_eq_u16_e32 vcc_lo, 0, v5
	s_delay_alu instid0(VALU_DEP_2) | instskip(SKIP_1) | instid1(VALU_DEP_1)
	v_add_nc_u32_e32 v6, 1, v2
	s_waitcnt vmcnt(1)
	v_dual_cndmask_b32 v2, v6, v2 :: v_dual_and_b32 v5, 0x7fff, v32
	s_delay_alu instid0(VALU_DEP_1) | instskip(SKIP_2) | instid1(VALU_DEP_3)
	v_cmp_eq_u16_e32 vcc_lo, 0, v5
	s_waitcnt vmcnt(0)
	v_and_b32_e32 v4, 0x7fff, v4
	v_add_nc_u32_e32 v6, 1, v2
	s_delay_alu instid0(VALU_DEP_1) | instskip(NEXT) | instid1(VALU_DEP_3)
	v_cndmask_b32_e32 v2, v6, v2, vcc_lo
	v_cmp_eq_u16_e32 vcc_lo, 0, v4
	s_delay_alu instid0(VALU_DEP_2) | instskip(NEXT) | instid1(VALU_DEP_1)
	v_add_nc_u32_e32 v5, 1, v2
	v_cndmask_b32_e32 v2, v5, v2, vcc_lo
	v_dual_mov_b32 v7, v3 :: v_dual_mov_b32 v4, v0
	s_delay_alu instid0(VALU_DEP_2)
	v_dual_mov_b32 v5, v1 :: v_dual_mov_b32 v6, v2
.LBB2_22:                               ;   in Loop: Header=BB2_4 Depth=1
	s_delay_alu instid0(VALU_DEP_1) | instskip(NEXT) | instid1(VALU_DEP_2)
	v_dual_mov_b32 v0, v4 :: v_dual_mov_b32 v1, v5
	v_dual_mov_b32 v2, v6 :: v_dual_mov_b32 v3, v7
	s_or_b32 exec_lo, exec_lo, s4
	s_and_saveexec_b32 s4, s3
	s_cbranch_execz .LBB2_3
.LBB2_23:                               ;   in Loop: Header=BB2_4 Depth=1
	s_delay_alu instid0(VALU_DEP_1)
	v_add_nc_u32_e32 v31, 1, v3
	s_and_not1_b32 vcc_lo, exec_lo, s9
	s_cbranch_vccnz .LBB2_25
; %bb.24:                               ;   in Loop: Header=BB2_4 Depth=1
	v_add_co_u32 v4, vcc_lo, s20, v27
	v_add_co_ci_u32_e32 v5, vcc_lo, s21, v28, vcc_lo
	global_load_b64 v[4:5], v[4:5], off
	s_waitcnt vmcnt(0)
	v_and_b32_e32 v6, 0x7fff, v4
	v_lshrrev_b32_e32 v4, 16, v4
	s_delay_alu instid0(VALU_DEP_2) | instskip(NEXT) | instid1(VALU_DEP_2)
	v_cmp_eq_u16_e32 vcc_lo, 0, v6
	v_and_b32_e32 v4, 0x7fff, v4
	v_cndmask_b32_e32 v6, v31, v3, vcc_lo
	s_delay_alu instid0(VALU_DEP_2) | instskip(NEXT) | instid1(VALU_DEP_2)
	v_cmp_eq_u16_e32 vcc_lo, 0, v4
	v_add_nc_u32_e32 v7, 1, v6
	s_delay_alu instid0(VALU_DEP_1) | instskip(SKIP_2) | instid1(VALU_DEP_3)
	v_cndmask_b32_e32 v4, v7, v6, vcc_lo
	v_and_b32_e32 v6, 0x7fff, v5
	v_lshrrev_b32_e32 v5, 16, v5
	v_add_nc_u32_e32 v7, 1, v4
	s_delay_alu instid0(VALU_DEP_3) | instskip(NEXT) | instid1(VALU_DEP_2)
	v_cmp_eq_u16_e32 vcc_lo, 0, v6
	v_dual_cndmask_b32 v6, v7, v4 :: v_dual_and_b32 v7, 0x7fff, v5
	v_dual_mov_b32 v4, v0 :: v_dual_mov_b32 v5, v1
	s_delay_alu instid0(VALU_DEP_2) | instskip(NEXT) | instid1(VALU_DEP_3)
	v_add_nc_u32_e32 v32, 1, v6
	v_cmp_eq_u16_e32 vcc_lo, 0, v7
	s_delay_alu instid0(VALU_DEP_2)
	v_dual_cndmask_b32 v7, v32, v6 :: v_dual_mov_b32 v6, v2
	s_cbranch_execnz .LBB2_2
	s_branch .LBB2_26
.LBB2_25:                               ;   in Loop: Header=BB2_4 Depth=1
                                        ; implicit-def: $vgpr4_vgpr5_vgpr6_vgpr7
.LBB2_26:                               ;   in Loop: Header=BB2_4 Depth=1
	v_add_co_u32 v4, vcc_lo, s20, v29
	v_add_co_ci_u32_e32 v5, vcc_lo, s21, v30, vcc_lo
	global_load_u16 v6, v[4:5], off offset:384
	v_add_co_u32 v4, vcc_lo, s20, v25
	v_add_co_ci_u32_e32 v5, vcc_lo, s21, v26, vcc_lo
	global_load_u16 v7, v[4:5], off offset:384
	;; [unrolled: 3-line block ×4, first 2 shown]
	s_waitcnt vmcnt(3)
	v_and_b32_e32 v5, 0x7fff, v6
	s_delay_alu instid0(VALU_DEP_1) | instskip(SKIP_3) | instid1(VALU_DEP_2)
	v_cmp_eq_u16_e32 vcc_lo, 0, v5
	s_waitcnt vmcnt(2)
	v_and_b32_e32 v5, 0x7fff, v7
	v_cndmask_b32_e32 v3, v31, v3, vcc_lo
	v_cmp_eq_u16_e32 vcc_lo, 0, v5
	s_waitcnt vmcnt(1)
	v_and_b32_e32 v5, 0x7fff, v32
	s_waitcnt vmcnt(0)
	v_and_b32_e32 v4, 0x7fff, v4
	v_add_nc_u32_e32 v6, 1, v3
	s_delay_alu instid0(VALU_DEP_1) | instskip(SKIP_1) | instid1(VALU_DEP_2)
	v_cndmask_b32_e32 v3, v6, v3, vcc_lo
	v_cmp_eq_u16_e32 vcc_lo, 0, v5
	v_add_nc_u32_e32 v6, 1, v3
	s_delay_alu instid0(VALU_DEP_1) | instskip(SKIP_1) | instid1(VALU_DEP_2)
	v_cndmask_b32_e32 v3, v6, v3, vcc_lo
	v_cmp_eq_u16_e32 vcc_lo, 0, v4
	v_add_nc_u32_e32 v5, 1, v3
	s_delay_alu instid0(VALU_DEP_1) | instskip(NEXT) | instid1(VALU_DEP_1)
	v_cndmask_b32_e32 v3, v5, v3, vcc_lo
	v_mov_b32_e32 v7, v3
	v_dual_mov_b32 v5, v1 :: v_dual_mov_b32 v6, v2
	v_mov_b32_e32 v4, v0
	s_branch .LBB2_2
.LBB2_27:
	s_or_b32 exec_lo, exec_lo, s8
.LBB2_28:
	s_delay_alu instid0(SALU_CYCLE_1) | instskip(SKIP_1) | instid1(SALU_CYCLE_1)
	s_or_b32 exec_lo, exec_lo, s13
	s_sub_i32 s0, s18, s12
	s_cmp_lt_i32 s0, 1
	s_cbranch_scc1 .LBB2_126
; %bb.29:
	v_mov_b32_e32 v9, 0
	s_cmp_eq_u32 s16, 1
	v_ashrrev_i32_e32 v11, 31, v10
	s_cselect_b32 s1, -1, 0
	s_cmp_lg_u32 s16, 1
	v_lshlrev_b64 v[4:5], 1, v[8:9]
	s_mov_b32 s2, exec_lo
	s_delay_alu instid0(VALU_DEP_1) | instskip(NEXT) | instid1(VALU_DEP_1)
	v_add_co_u32 v9, s0, s20, v4
	v_add_co_ci_u32_e64 v17, s0, s21, v5, s0
	s_cselect_b32 s0, -1, 0
	v_cmpx_gt_i32_e64 s17, v10
	s_cbranch_execnz .LBB2_33
; %bb.30:
	s_or_b32 exec_lo, exec_lo, s2
	s_delay_alu instid0(SALU_CYCLE_1)
	s_mov_b32 s2, exec_lo
	v_cmpx_gt_i32_e64 s17, v16
	s_cbranch_execnz .LBB2_56
.LBB2_31:
	s_or_b32 exec_lo, exec_lo, s2
	s_delay_alu instid0(SALU_CYCLE_1)
	s_mov_b32 s2, exec_lo
	v_cmpx_gt_i32_e64 s17, v15
	s_cbranch_execnz .LBB2_79
.LBB2_32:
	s_or_b32 exec_lo, exec_lo, s2
	s_delay_alu instid0(SALU_CYCLE_1)
	s_mov_b32 s2, exec_lo
	v_cmpx_gt_i32_e64 s17, v14
	s_cbranch_execnz .LBB2_102
	s_branch .LBB2_125
.LBB2_33:
	v_mul_lo_u32 v6, v10, s23
	v_mul_lo_u32 v7, v11, s22
	v_mad_u64_u32 v[4:5], null, v10, s22, 0
	s_mov_b32 s3, exec_lo
	s_delay_alu instid0(VALU_DEP_1) | instskip(SKIP_1) | instid1(VALU_DEP_2)
	v_add3_u32 v5, v5, v6, v7
	v_lshlrev_b64 v[6:7], 1, v[10:11]
	v_lshlrev_b64 v[4:5], 1, v[4:5]
	s_delay_alu instid0(VALU_DEP_2) | instskip(NEXT) | instid1(VALU_DEP_3)
	v_add_co_u32 v18, vcc_lo, s20, v6
	v_add_co_ci_u32_e32 v19, vcc_lo, s21, v7, vcc_lo
	s_delay_alu instid0(VALU_DEP_3) | instskip(NEXT) | instid1(VALU_DEP_4)
	v_add_co_u32 v4, vcc_lo, v9, v4
	v_add_co_ci_u32_e32 v5, vcc_lo, v17, v5, vcc_lo
	v_cmpx_gt_i32_e64 s18, v8
	s_cbranch_execz .LBB2_37
; %bb.34:
	s_delay_alu instid0(VALU_DEP_2)
	v_dual_mov_b32 v7, v5 :: v_dual_mov_b32 v6, v4
	s_and_not1_b32 vcc_lo, exec_lo, s1
	s_cbranch_vccnz .LBB2_36
; %bb.35:
	v_mad_u64_u32 v[6:7], null, v8, s22, 0
	s_delay_alu instid0(VALU_DEP_1) | instskip(NEXT) | instid1(VALU_DEP_1)
	v_mad_u64_u32 v[20:21], null, v8, s23, v[7:8]
	v_mov_b32_e32 v7, v20
	s_delay_alu instid0(VALU_DEP_1) | instskip(NEXT) | instid1(VALU_DEP_1)
	v_lshlrev_b64 v[6:7], 1, v[6:7]
	v_add_co_u32 v6, vcc_lo, v18, v6
	s_delay_alu instid0(VALU_DEP_2)
	v_add_co_ci_u32_e32 v7, vcc_lo, v19, v7, vcc_lo
.LBB2_36:
	global_load_u16 v6, v[6:7], off
	s_waitcnt vmcnt(0)
	v_and_b32_e32 v6, 0x7fff, v6
	s_delay_alu instid0(VALU_DEP_1)
	v_cmp_ne_u16_e32 vcc_lo, 0, v6
	v_add_co_ci_u32_e32 v0, vcc_lo, 0, v0, vcc_lo
.LBB2_37:
	s_or_b32 exec_lo, exec_lo, s3
	v_or_b32_e32 v20, 1, v8
	s_mov_b32 s3, exec_lo
	s_delay_alu instid0(VALU_DEP_1)
	v_cmpx_gt_i32_e64 s18, v20
	s_cbranch_execz .LBB2_43
; %bb.38:
	s_and_not1_b32 vcc_lo, exec_lo, s0
	s_cbranch_vccnz .LBB2_40
; %bb.39:
	v_add_co_u32 v6, vcc_lo, v4, 2
	v_add_co_ci_u32_e32 v7, vcc_lo, 0, v5, vcc_lo
	s_cbranch_execz .LBB2_41
	s_branch .LBB2_42
.LBB2_40:
                                        ; implicit-def: $vgpr6_vgpr7
.LBB2_41:
	v_mad_u64_u32 v[6:7], null, v20, s22, 0
	s_delay_alu instid0(VALU_DEP_1) | instskip(NEXT) | instid1(VALU_DEP_1)
	v_mad_u64_u32 v[21:22], null, v20, s23, v[7:8]
	v_mov_b32_e32 v7, v21
	s_delay_alu instid0(VALU_DEP_1) | instskip(NEXT) | instid1(VALU_DEP_1)
	v_lshlrev_b64 v[6:7], 1, v[6:7]
	v_add_co_u32 v6, vcc_lo, v18, v6
	s_delay_alu instid0(VALU_DEP_2)
	v_add_co_ci_u32_e32 v7, vcc_lo, v19, v7, vcc_lo
.LBB2_42:
	global_load_u16 v6, v[6:7], off
	s_waitcnt vmcnt(0)
	v_and_b32_e32 v6, 0x7fff, v6
	s_delay_alu instid0(VALU_DEP_1)
	v_cmp_ne_u16_e32 vcc_lo, 0, v6
	v_add_co_ci_u32_e32 v0, vcc_lo, 0, v0, vcc_lo
.LBB2_43:
	s_or_b32 exec_lo, exec_lo, s3
	v_or_b32_e32 v20, 2, v8
	s_mov_b32 s3, exec_lo
	s_delay_alu instid0(VALU_DEP_1)
	v_cmpx_gt_i32_e64 s18, v20
	s_cbranch_execz .LBB2_49
; %bb.44:
	s_and_not1_b32 vcc_lo, exec_lo, s0
	s_cbranch_vccnz .LBB2_46
; %bb.45:
	v_add_co_u32 v6, vcc_lo, v4, 4
	v_add_co_ci_u32_e32 v7, vcc_lo, 0, v5, vcc_lo
	s_cbranch_execz .LBB2_47
	s_branch .LBB2_48
.LBB2_46:
                                        ; implicit-def: $vgpr6_vgpr7
.LBB2_47:
	v_mad_u64_u32 v[6:7], null, v20, s22, 0
	s_delay_alu instid0(VALU_DEP_1) | instskip(NEXT) | instid1(VALU_DEP_1)
	v_mad_u64_u32 v[21:22], null, v20, s23, v[7:8]
	v_mov_b32_e32 v7, v21
	s_delay_alu instid0(VALU_DEP_1) | instskip(NEXT) | instid1(VALU_DEP_1)
	v_lshlrev_b64 v[6:7], 1, v[6:7]
	v_add_co_u32 v6, vcc_lo, v18, v6
	s_delay_alu instid0(VALU_DEP_2)
	v_add_co_ci_u32_e32 v7, vcc_lo, v19, v7, vcc_lo
.LBB2_48:
	global_load_u16 v6, v[6:7], off
	s_waitcnt vmcnt(0)
	v_and_b32_e32 v6, 0x7fff, v6
	s_delay_alu instid0(VALU_DEP_1)
	v_cmp_ne_u16_e32 vcc_lo, 0, v6
	v_add_co_ci_u32_e32 v0, vcc_lo, 0, v0, vcc_lo
.LBB2_49:
	s_or_b32 exec_lo, exec_lo, s3
	v_or_b32_e32 v6, 3, v8
	s_mov_b32 s3, exec_lo
	s_delay_alu instid0(VALU_DEP_1)
	v_cmpx_gt_i32_e64 s18, v6
	s_cbranch_execz .LBB2_55
; %bb.50:
	s_and_not1_b32 vcc_lo, exec_lo, s0
	s_cbranch_vccnz .LBB2_52
; %bb.51:
	v_add_co_u32 v4, vcc_lo, v4, 6
	v_add_co_ci_u32_e32 v5, vcc_lo, 0, v5, vcc_lo
	s_cbranch_execz .LBB2_53
	s_branch .LBB2_54
.LBB2_52:
                                        ; implicit-def: $vgpr4_vgpr5
.LBB2_53:
	v_mad_u64_u32 v[4:5], null, v6, s22, 0
	s_delay_alu instid0(VALU_DEP_1) | instskip(NEXT) | instid1(VALU_DEP_1)
	v_mad_u64_u32 v[20:21], null, v6, s23, v[5:6]
	v_mov_b32_e32 v5, v20
	s_delay_alu instid0(VALU_DEP_1) | instskip(NEXT) | instid1(VALU_DEP_1)
	v_lshlrev_b64 v[4:5], 1, v[4:5]
	v_add_co_u32 v4, vcc_lo, v18, v4
	s_delay_alu instid0(VALU_DEP_2)
	v_add_co_ci_u32_e32 v5, vcc_lo, v19, v5, vcc_lo
.LBB2_54:
	global_load_u16 v4, v[4:5], off
	s_waitcnt vmcnt(0)
	v_and_b32_e32 v4, 0x7fff, v4
	s_delay_alu instid0(VALU_DEP_1)
	v_cmp_ne_u16_e32 vcc_lo, 0, v4
	v_add_co_ci_u32_e32 v0, vcc_lo, 0, v0, vcc_lo
.LBB2_55:
	s_or_b32 exec_lo, exec_lo, s3
	s_delay_alu instid0(SALU_CYCLE_1) | instskip(NEXT) | instid1(SALU_CYCLE_1)
	s_or_b32 exec_lo, exec_lo, s2
	s_mov_b32 s2, exec_lo
	v_cmpx_gt_i32_e64 s17, v16
	s_cbranch_execz .LBB2_31
.LBB2_56:
	v_ashrrev_i32_e32 v6, 31, v16
	v_mul_lo_u32 v7, v16, s23
	v_mad_u64_u32 v[4:5], null, v16, s22, 0
	s_mov_b32 s3, exec_lo
	s_delay_alu instid0(VALU_DEP_3) | instskip(NEXT) | instid1(VALU_DEP_1)
	v_mul_lo_u32 v6, v6, s22
	v_add3_u32 v5, v5, v7, v6
	v_lshlrev_b64 v[6:7], 1, v[10:11]
	s_delay_alu instid0(VALU_DEP_2) | instskip(NEXT) | instid1(VALU_DEP_2)
	v_lshlrev_b64 v[4:5], 1, v[4:5]
	v_add_co_u32 v16, vcc_lo, s20, v6
	s_delay_alu instid0(VALU_DEP_3) | instskip(NEXT) | instid1(VALU_DEP_3)
	v_add_co_ci_u32_e32 v18, vcc_lo, s21, v7, vcc_lo
	v_add_co_u32 v4, vcc_lo, v9, v4
	s_delay_alu instid0(VALU_DEP_4)
	v_add_co_ci_u32_e32 v5, vcc_lo, v17, v5, vcc_lo
	v_cmpx_gt_i32_e64 s18, v8
	s_cbranch_execz .LBB2_60
; %bb.57:
	s_delay_alu instid0(VALU_DEP_2)
	v_dual_mov_b32 v7, v5 :: v_dual_mov_b32 v6, v4
	s_and_not1_b32 vcc_lo, exec_lo, s1
	s_cbranch_vccnz .LBB2_59
; %bb.58:
	v_mad_u64_u32 v[6:7], null, v8, s22, 0
	s_delay_alu instid0(VALU_DEP_1) | instskip(NEXT) | instid1(VALU_DEP_1)
	v_mad_u64_u32 v[19:20], null, v8, s23, v[7:8]
	v_mov_b32_e32 v7, v19
	s_delay_alu instid0(VALU_DEP_1) | instskip(NEXT) | instid1(VALU_DEP_1)
	v_lshlrev_b64 v[6:7], 1, v[6:7]
	v_add_co_u32 v6, vcc_lo, v16, v6
	s_delay_alu instid0(VALU_DEP_2) | instskip(NEXT) | instid1(VALU_DEP_2)
	v_add_co_ci_u32_e32 v7, vcc_lo, v18, v7, vcc_lo
	v_add_co_u32 v6, vcc_lo, 0x80, v6
	s_delay_alu instid0(VALU_DEP_2)
	v_add_co_ci_u32_e32 v7, vcc_lo, 0, v7, vcc_lo
.LBB2_59:
	global_load_u16 v6, v[6:7], off
	s_waitcnt vmcnt(0)
	v_and_b32_e32 v6, 0x7fff, v6
	s_delay_alu instid0(VALU_DEP_1)
	v_cmp_ne_u16_e32 vcc_lo, 0, v6
	v_add_co_ci_u32_e32 v1, vcc_lo, 0, v1, vcc_lo
.LBB2_60:
	s_or_b32 exec_lo, exec_lo, s3
	v_or_b32_e32 v19, 1, v8
	s_mov_b32 s3, exec_lo
	s_delay_alu instid0(VALU_DEP_1)
	v_cmpx_gt_i32_e64 s18, v19
	s_cbranch_execz .LBB2_66
; %bb.61:
	s_and_not1_b32 vcc_lo, exec_lo, s0
	s_cbranch_vccnz .LBB2_63
; %bb.62:
	v_add_co_u32 v6, vcc_lo, v4, 2
	v_add_co_ci_u32_e32 v7, vcc_lo, 0, v5, vcc_lo
	s_cbranch_execz .LBB2_64
	s_branch .LBB2_65
.LBB2_63:
                                        ; implicit-def: $vgpr6_vgpr7
.LBB2_64:
	v_mad_u64_u32 v[6:7], null, v19, s22, 0
	s_delay_alu instid0(VALU_DEP_1) | instskip(NEXT) | instid1(VALU_DEP_1)
	v_mad_u64_u32 v[20:21], null, v19, s23, v[7:8]
	v_mov_b32_e32 v7, v20
	s_delay_alu instid0(VALU_DEP_1) | instskip(NEXT) | instid1(VALU_DEP_1)
	v_lshlrev_b64 v[6:7], 1, v[6:7]
	v_add_co_u32 v6, vcc_lo, v16, v6
	s_delay_alu instid0(VALU_DEP_2) | instskip(NEXT) | instid1(VALU_DEP_2)
	v_add_co_ci_u32_e32 v7, vcc_lo, v18, v7, vcc_lo
	v_add_co_u32 v6, vcc_lo, 0x80, v6
	s_delay_alu instid0(VALU_DEP_2)
	v_add_co_ci_u32_e32 v7, vcc_lo, 0, v7, vcc_lo
.LBB2_65:
	global_load_u16 v6, v[6:7], off
	s_waitcnt vmcnt(0)
	v_and_b32_e32 v6, 0x7fff, v6
	s_delay_alu instid0(VALU_DEP_1)
	v_cmp_ne_u16_e32 vcc_lo, 0, v6
	v_add_co_ci_u32_e32 v1, vcc_lo, 0, v1, vcc_lo
.LBB2_66:
	s_or_b32 exec_lo, exec_lo, s3
	v_or_b32_e32 v19, 2, v8
	s_mov_b32 s3, exec_lo
	s_delay_alu instid0(VALU_DEP_1)
	v_cmpx_gt_i32_e64 s18, v19
	s_cbranch_execz .LBB2_72
; %bb.67:
	s_and_not1_b32 vcc_lo, exec_lo, s0
	s_cbranch_vccnz .LBB2_69
; %bb.68:
	v_add_co_u32 v6, vcc_lo, v4, 4
	v_add_co_ci_u32_e32 v7, vcc_lo, 0, v5, vcc_lo
	s_cbranch_execz .LBB2_70
	s_branch .LBB2_71
.LBB2_69:
                                        ; implicit-def: $vgpr6_vgpr7
.LBB2_70:
	v_mad_u64_u32 v[6:7], null, v19, s22, 0
	s_delay_alu instid0(VALU_DEP_1) | instskip(NEXT) | instid1(VALU_DEP_1)
	v_mad_u64_u32 v[20:21], null, v19, s23, v[7:8]
	v_mov_b32_e32 v7, v20
	s_delay_alu instid0(VALU_DEP_1) | instskip(NEXT) | instid1(VALU_DEP_1)
	v_lshlrev_b64 v[6:7], 1, v[6:7]
	v_add_co_u32 v6, vcc_lo, v16, v6
	s_delay_alu instid0(VALU_DEP_2) | instskip(NEXT) | instid1(VALU_DEP_2)
	v_add_co_ci_u32_e32 v7, vcc_lo, v18, v7, vcc_lo
	v_add_co_u32 v6, vcc_lo, 0x80, v6
	s_delay_alu instid0(VALU_DEP_2)
	v_add_co_ci_u32_e32 v7, vcc_lo, 0, v7, vcc_lo
.LBB2_71:
	global_load_u16 v6, v[6:7], off
	s_waitcnt vmcnt(0)
	v_and_b32_e32 v6, 0x7fff, v6
	s_delay_alu instid0(VALU_DEP_1)
	v_cmp_ne_u16_e32 vcc_lo, 0, v6
	v_add_co_ci_u32_e32 v1, vcc_lo, 0, v1, vcc_lo
.LBB2_72:
	s_or_b32 exec_lo, exec_lo, s3
	v_or_b32_e32 v6, 3, v8
	s_mov_b32 s3, exec_lo
	s_delay_alu instid0(VALU_DEP_1)
	v_cmpx_gt_i32_e64 s18, v6
	s_cbranch_execz .LBB2_78
; %bb.73:
	s_and_not1_b32 vcc_lo, exec_lo, s0
	s_cbranch_vccnz .LBB2_75
; %bb.74:
	v_add_co_u32 v4, vcc_lo, v4, 6
	v_add_co_ci_u32_e32 v5, vcc_lo, 0, v5, vcc_lo
	s_cbranch_execz .LBB2_76
	s_branch .LBB2_77
.LBB2_75:
                                        ; implicit-def: $vgpr4_vgpr5
.LBB2_76:
	v_mad_u64_u32 v[4:5], null, v6, s22, 0
	s_delay_alu instid0(VALU_DEP_1) | instskip(NEXT) | instid1(VALU_DEP_1)
	v_mad_u64_u32 v[19:20], null, v6, s23, v[5:6]
	v_mov_b32_e32 v5, v19
	s_delay_alu instid0(VALU_DEP_1) | instskip(NEXT) | instid1(VALU_DEP_1)
	v_lshlrev_b64 v[4:5], 1, v[4:5]
	v_add_co_u32 v4, vcc_lo, v16, v4
	s_delay_alu instid0(VALU_DEP_2) | instskip(NEXT) | instid1(VALU_DEP_2)
	v_add_co_ci_u32_e32 v5, vcc_lo, v18, v5, vcc_lo
	v_add_co_u32 v4, vcc_lo, 0x80, v4
	s_delay_alu instid0(VALU_DEP_2)
	v_add_co_ci_u32_e32 v5, vcc_lo, 0, v5, vcc_lo
.LBB2_77:
	global_load_u16 v4, v[4:5], off
	s_waitcnt vmcnt(0)
	v_and_b32_e32 v4, 0x7fff, v4
	s_delay_alu instid0(VALU_DEP_1)
	v_cmp_ne_u16_e32 vcc_lo, 0, v4
	v_add_co_ci_u32_e32 v1, vcc_lo, 0, v1, vcc_lo
.LBB2_78:
	s_or_b32 exec_lo, exec_lo, s3
	s_delay_alu instid0(SALU_CYCLE_1) | instskip(NEXT) | instid1(SALU_CYCLE_1)
	s_or_b32 exec_lo, exec_lo, s2
	s_mov_b32 s2, exec_lo
	v_cmpx_gt_i32_e64 s17, v15
	s_cbranch_execz .LBB2_32
.LBB2_79:
	v_ashrrev_i32_e32 v6, 31, v15
	v_mul_lo_u32 v7, v15, s23
	v_mad_u64_u32 v[4:5], null, v15, s22, 0
	s_mov_b32 s3, exec_lo
	s_delay_alu instid0(VALU_DEP_3) | instskip(NEXT) | instid1(VALU_DEP_1)
	v_mul_lo_u32 v6, v6, s22
	v_add3_u32 v5, v5, v7, v6
	v_lshlrev_b64 v[6:7], 1, v[10:11]
	s_delay_alu instid0(VALU_DEP_2) | instskip(NEXT) | instid1(VALU_DEP_2)
	v_lshlrev_b64 v[4:5], 1, v[4:5]
	v_add_co_u32 v15, vcc_lo, s20, v6
	s_delay_alu instid0(VALU_DEP_3) | instskip(NEXT) | instid1(VALU_DEP_3)
	v_add_co_ci_u32_e32 v16, vcc_lo, s21, v7, vcc_lo
	v_add_co_u32 v4, vcc_lo, v9, v4
	s_delay_alu instid0(VALU_DEP_4)
	v_add_co_ci_u32_e32 v5, vcc_lo, v17, v5, vcc_lo
	v_cmpx_gt_i32_e64 s18, v8
	s_cbranch_execz .LBB2_83
; %bb.80:
	s_delay_alu instid0(VALU_DEP_2)
	v_dual_mov_b32 v7, v5 :: v_dual_mov_b32 v6, v4
	s_and_not1_b32 vcc_lo, exec_lo, s1
	s_cbranch_vccnz .LBB2_82
; %bb.81:
	v_mad_u64_u32 v[6:7], null, v8, s22, 0
	s_delay_alu instid0(VALU_DEP_1) | instskip(NEXT) | instid1(VALU_DEP_1)
	v_mad_u64_u32 v[18:19], null, v8, s23, v[7:8]
	v_mov_b32_e32 v7, v18
	s_delay_alu instid0(VALU_DEP_1) | instskip(NEXT) | instid1(VALU_DEP_1)
	v_lshlrev_b64 v[6:7], 1, v[6:7]
	v_add_co_u32 v6, vcc_lo, v15, v6
	s_delay_alu instid0(VALU_DEP_2) | instskip(NEXT) | instid1(VALU_DEP_2)
	v_add_co_ci_u32_e32 v7, vcc_lo, v16, v7, vcc_lo
	v_add_co_u32 v6, vcc_lo, 0x100, v6
	s_delay_alu instid0(VALU_DEP_2)
	v_add_co_ci_u32_e32 v7, vcc_lo, 0, v7, vcc_lo
.LBB2_82:
	global_load_u16 v6, v[6:7], off
	s_waitcnt vmcnt(0)
	v_and_b32_e32 v6, 0x7fff, v6
	s_delay_alu instid0(VALU_DEP_1)
	v_cmp_ne_u16_e32 vcc_lo, 0, v6
	v_add_co_ci_u32_e32 v2, vcc_lo, 0, v2, vcc_lo
.LBB2_83:
	s_or_b32 exec_lo, exec_lo, s3
	v_or_b32_e32 v18, 1, v8
	s_mov_b32 s3, exec_lo
	s_delay_alu instid0(VALU_DEP_1)
	v_cmpx_gt_i32_e64 s18, v18
	s_cbranch_execz .LBB2_89
; %bb.84:
	s_and_not1_b32 vcc_lo, exec_lo, s0
	s_cbranch_vccnz .LBB2_86
; %bb.85:
	v_add_co_u32 v6, vcc_lo, v4, 2
	v_add_co_ci_u32_e32 v7, vcc_lo, 0, v5, vcc_lo
	s_cbranch_execz .LBB2_87
	s_branch .LBB2_88
.LBB2_86:
                                        ; implicit-def: $vgpr6_vgpr7
.LBB2_87:
	v_mad_u64_u32 v[6:7], null, v18, s22, 0
	s_delay_alu instid0(VALU_DEP_1) | instskip(NEXT) | instid1(VALU_DEP_1)
	v_mad_u64_u32 v[19:20], null, v18, s23, v[7:8]
	v_mov_b32_e32 v7, v19
	s_delay_alu instid0(VALU_DEP_1) | instskip(NEXT) | instid1(VALU_DEP_1)
	v_lshlrev_b64 v[6:7], 1, v[6:7]
	v_add_co_u32 v6, vcc_lo, v15, v6
	s_delay_alu instid0(VALU_DEP_2) | instskip(NEXT) | instid1(VALU_DEP_2)
	v_add_co_ci_u32_e32 v7, vcc_lo, v16, v7, vcc_lo
	v_add_co_u32 v6, vcc_lo, 0x100, v6
	s_delay_alu instid0(VALU_DEP_2)
	v_add_co_ci_u32_e32 v7, vcc_lo, 0, v7, vcc_lo
.LBB2_88:
	global_load_u16 v6, v[6:7], off
	s_waitcnt vmcnt(0)
	v_and_b32_e32 v6, 0x7fff, v6
	s_delay_alu instid0(VALU_DEP_1)
	v_cmp_ne_u16_e32 vcc_lo, 0, v6
	v_add_co_ci_u32_e32 v2, vcc_lo, 0, v2, vcc_lo
.LBB2_89:
	s_or_b32 exec_lo, exec_lo, s3
	v_or_b32_e32 v18, 2, v8
	s_mov_b32 s3, exec_lo
	s_delay_alu instid0(VALU_DEP_1)
	v_cmpx_gt_i32_e64 s18, v18
	s_cbranch_execz .LBB2_95
; %bb.90:
	s_and_not1_b32 vcc_lo, exec_lo, s0
	s_cbranch_vccnz .LBB2_92
; %bb.91:
	v_add_co_u32 v6, vcc_lo, v4, 4
	v_add_co_ci_u32_e32 v7, vcc_lo, 0, v5, vcc_lo
	s_cbranch_execz .LBB2_93
	s_branch .LBB2_94
.LBB2_92:
                                        ; implicit-def: $vgpr6_vgpr7
.LBB2_93:
	v_mad_u64_u32 v[6:7], null, v18, s22, 0
	s_delay_alu instid0(VALU_DEP_1) | instskip(NEXT) | instid1(VALU_DEP_1)
	v_mad_u64_u32 v[19:20], null, v18, s23, v[7:8]
	v_mov_b32_e32 v7, v19
	s_delay_alu instid0(VALU_DEP_1) | instskip(NEXT) | instid1(VALU_DEP_1)
	v_lshlrev_b64 v[6:7], 1, v[6:7]
	v_add_co_u32 v6, vcc_lo, v15, v6
	s_delay_alu instid0(VALU_DEP_2) | instskip(NEXT) | instid1(VALU_DEP_2)
	v_add_co_ci_u32_e32 v7, vcc_lo, v16, v7, vcc_lo
	v_add_co_u32 v6, vcc_lo, 0x100, v6
	s_delay_alu instid0(VALU_DEP_2)
	v_add_co_ci_u32_e32 v7, vcc_lo, 0, v7, vcc_lo
.LBB2_94:
	global_load_u16 v6, v[6:7], off
	s_waitcnt vmcnt(0)
	v_and_b32_e32 v6, 0x7fff, v6
	s_delay_alu instid0(VALU_DEP_1)
	v_cmp_ne_u16_e32 vcc_lo, 0, v6
	v_add_co_ci_u32_e32 v2, vcc_lo, 0, v2, vcc_lo
.LBB2_95:
	s_or_b32 exec_lo, exec_lo, s3
	v_or_b32_e32 v6, 3, v8
	s_mov_b32 s3, exec_lo
	s_delay_alu instid0(VALU_DEP_1)
	v_cmpx_gt_i32_e64 s18, v6
	s_cbranch_execz .LBB2_101
; %bb.96:
	s_and_not1_b32 vcc_lo, exec_lo, s0
	s_cbranch_vccnz .LBB2_98
; %bb.97:
	v_add_co_u32 v4, vcc_lo, v4, 6
	v_add_co_ci_u32_e32 v5, vcc_lo, 0, v5, vcc_lo
	s_cbranch_execz .LBB2_99
	s_branch .LBB2_100
.LBB2_98:
                                        ; implicit-def: $vgpr4_vgpr5
.LBB2_99:
	v_mad_u64_u32 v[4:5], null, v6, s22, 0
	s_delay_alu instid0(VALU_DEP_1) | instskip(NEXT) | instid1(VALU_DEP_1)
	v_mad_u64_u32 v[18:19], null, v6, s23, v[5:6]
	v_mov_b32_e32 v5, v18
	s_delay_alu instid0(VALU_DEP_1) | instskip(NEXT) | instid1(VALU_DEP_1)
	v_lshlrev_b64 v[4:5], 1, v[4:5]
	v_add_co_u32 v4, vcc_lo, v15, v4
	s_delay_alu instid0(VALU_DEP_2) | instskip(NEXT) | instid1(VALU_DEP_2)
	v_add_co_ci_u32_e32 v5, vcc_lo, v16, v5, vcc_lo
	v_add_co_u32 v4, vcc_lo, 0x100, v4
	s_delay_alu instid0(VALU_DEP_2)
	v_add_co_ci_u32_e32 v5, vcc_lo, 0, v5, vcc_lo
.LBB2_100:
	global_load_u16 v4, v[4:5], off
	s_waitcnt vmcnt(0)
	v_and_b32_e32 v4, 0x7fff, v4
	s_delay_alu instid0(VALU_DEP_1)
	v_cmp_ne_u16_e32 vcc_lo, 0, v4
	v_add_co_ci_u32_e32 v2, vcc_lo, 0, v2, vcc_lo
.LBB2_101:
	s_or_b32 exec_lo, exec_lo, s3
	s_delay_alu instid0(SALU_CYCLE_1) | instskip(NEXT) | instid1(SALU_CYCLE_1)
	s_or_b32 exec_lo, exec_lo, s2
	s_mov_b32 s2, exec_lo
	v_cmpx_gt_i32_e64 s17, v14
	s_cbranch_execz .LBB2_125
.LBB2_102:
	v_ashrrev_i32_e32 v6, 31, v14
	v_mul_lo_u32 v7, v14, s23
	v_mad_u64_u32 v[4:5], null, v14, s22, 0
	s_mov_b32 s3, exec_lo
	s_delay_alu instid0(VALU_DEP_3) | instskip(NEXT) | instid1(VALU_DEP_1)
	v_mul_lo_u32 v6, v6, s22
	v_add3_u32 v5, v5, v7, v6
	v_lshlrev_b64 v[6:7], 1, v[10:11]
	s_delay_alu instid0(VALU_DEP_2) | instskip(NEXT) | instid1(VALU_DEP_2)
	v_lshlrev_b64 v[4:5], 1, v[4:5]
	v_add_co_u32 v10, vcc_lo, s20, v6
	s_delay_alu instid0(VALU_DEP_3) | instskip(NEXT) | instid1(VALU_DEP_3)
	v_add_co_ci_u32_e32 v11, vcc_lo, s21, v7, vcc_lo
	v_add_co_u32 v4, vcc_lo, v9, v4
	s_delay_alu instid0(VALU_DEP_4)
	v_add_co_ci_u32_e32 v5, vcc_lo, v17, v5, vcc_lo
	v_cmpx_gt_i32_e64 s18, v8
	s_cbranch_execz .LBB2_106
; %bb.103:
	s_delay_alu instid0(VALU_DEP_2)
	v_dual_mov_b32 v7, v5 :: v_dual_mov_b32 v6, v4
	s_and_not1_b32 vcc_lo, exec_lo, s1
	s_cbranch_vccnz .LBB2_105
; %bb.104:
	v_mad_u64_u32 v[6:7], null, v8, s22, 0
	s_delay_alu instid0(VALU_DEP_1) | instskip(NEXT) | instid1(VALU_DEP_1)
	v_mad_u64_u32 v[14:15], null, v8, s23, v[7:8]
	v_mov_b32_e32 v7, v14
	s_delay_alu instid0(VALU_DEP_1) | instskip(NEXT) | instid1(VALU_DEP_1)
	v_lshlrev_b64 v[6:7], 1, v[6:7]
	v_add_co_u32 v6, vcc_lo, v10, v6
	s_delay_alu instid0(VALU_DEP_2) | instskip(NEXT) | instid1(VALU_DEP_2)
	v_add_co_ci_u32_e32 v7, vcc_lo, v11, v7, vcc_lo
	v_add_co_u32 v6, vcc_lo, 0x180, v6
	s_delay_alu instid0(VALU_DEP_2)
	v_add_co_ci_u32_e32 v7, vcc_lo, 0, v7, vcc_lo
.LBB2_105:
	global_load_u16 v6, v[6:7], off
	s_waitcnt vmcnt(0)
	v_and_b32_e32 v6, 0x7fff, v6
	s_delay_alu instid0(VALU_DEP_1)
	v_cmp_ne_u16_e32 vcc_lo, 0, v6
	v_add_co_ci_u32_e32 v3, vcc_lo, 0, v3, vcc_lo
.LBB2_106:
	s_or_b32 exec_lo, exec_lo, s3
	v_or_b32_e32 v14, 1, v8
	v_cndmask_b32_e64 v9, 0, 1, s0
	s_mov_b32 s1, exec_lo
	s_delay_alu instid0(VALU_DEP_2)
	v_cmpx_gt_i32_e64 s18, v14
	s_cbranch_execz .LBB2_112
; %bb.107:
	s_and_not1_b32 vcc_lo, exec_lo, s0
	s_cbranch_vccnz .LBB2_109
; %bb.108:
	v_add_co_u32 v6, vcc_lo, v4, 2
	v_add_co_ci_u32_e32 v7, vcc_lo, 0, v5, vcc_lo
	s_cbranch_execz .LBB2_110
	s_branch .LBB2_111
.LBB2_109:
                                        ; implicit-def: $vgpr6_vgpr7
.LBB2_110:
	v_mad_u64_u32 v[6:7], null, v14, s22, 0
	s_delay_alu instid0(VALU_DEP_1) | instskip(NEXT) | instid1(VALU_DEP_1)
	v_mad_u64_u32 v[15:16], null, v14, s23, v[7:8]
	v_mov_b32_e32 v7, v15
	s_delay_alu instid0(VALU_DEP_1) | instskip(NEXT) | instid1(VALU_DEP_1)
	v_lshlrev_b64 v[6:7], 1, v[6:7]
	v_add_co_u32 v6, vcc_lo, v10, v6
	s_delay_alu instid0(VALU_DEP_2) | instskip(NEXT) | instid1(VALU_DEP_2)
	v_add_co_ci_u32_e32 v7, vcc_lo, v11, v7, vcc_lo
	v_add_co_u32 v6, vcc_lo, 0x180, v6
	s_delay_alu instid0(VALU_DEP_2)
	v_add_co_ci_u32_e32 v7, vcc_lo, 0, v7, vcc_lo
.LBB2_111:
	global_load_u16 v6, v[6:7], off
	s_waitcnt vmcnt(0)
	v_and_b32_e32 v6, 0x7fff, v6
	s_delay_alu instid0(VALU_DEP_1)
	v_cmp_ne_u16_e32 vcc_lo, 0, v6
	v_add_co_ci_u32_e32 v3, vcc_lo, 0, v3, vcc_lo
.LBB2_112:
	s_or_b32 exec_lo, exec_lo, s1
	v_or_b32_e32 v14, 2, v8
	s_mov_b32 s0, exec_lo
	s_delay_alu instid0(VALU_DEP_1)
	v_cmpx_gt_i32_e64 s18, v14
	s_cbranch_execz .LBB2_118
; %bb.113:
	v_cmp_ne_u32_e32 vcc_lo, 1, v9
	s_cbranch_vccnz .LBB2_115
; %bb.114:
	v_add_co_u32 v6, vcc_lo, v4, 4
	v_add_co_ci_u32_e32 v7, vcc_lo, 0, v5, vcc_lo
	s_cbranch_execz .LBB2_116
	s_branch .LBB2_117
.LBB2_115:
                                        ; implicit-def: $vgpr6_vgpr7
.LBB2_116:
	v_mad_u64_u32 v[6:7], null, v14, s22, 0
	s_delay_alu instid0(VALU_DEP_1) | instskip(NEXT) | instid1(VALU_DEP_1)
	v_mad_u64_u32 v[15:16], null, v14, s23, v[7:8]
	v_mov_b32_e32 v7, v15
	s_delay_alu instid0(VALU_DEP_1) | instskip(NEXT) | instid1(VALU_DEP_1)
	v_lshlrev_b64 v[6:7], 1, v[6:7]
	v_add_co_u32 v6, vcc_lo, v10, v6
	s_delay_alu instid0(VALU_DEP_2) | instskip(NEXT) | instid1(VALU_DEP_2)
	v_add_co_ci_u32_e32 v7, vcc_lo, v11, v7, vcc_lo
	v_add_co_u32 v6, vcc_lo, 0x180, v6
	s_delay_alu instid0(VALU_DEP_2)
	v_add_co_ci_u32_e32 v7, vcc_lo, 0, v7, vcc_lo
.LBB2_117:
	global_load_u16 v6, v[6:7], off
	s_waitcnt vmcnt(0)
	v_and_b32_e32 v6, 0x7fff, v6
	s_delay_alu instid0(VALU_DEP_1)
	v_cmp_ne_u16_e32 vcc_lo, 0, v6
	v_add_co_ci_u32_e32 v3, vcc_lo, 0, v3, vcc_lo
.LBB2_118:
	s_or_b32 exec_lo, exec_lo, s0
	v_or_b32_e32 v6, 3, v8
	s_mov_b32 s0, exec_lo
	s_delay_alu instid0(VALU_DEP_1)
	v_cmpx_gt_i32_e64 s18, v6
	s_cbranch_execz .LBB2_124
; %bb.119:
	v_cmp_ne_u32_e32 vcc_lo, 1, v9
	s_cbranch_vccnz .LBB2_121
; %bb.120:
	v_add_co_u32 v4, vcc_lo, v4, 6
	v_add_co_ci_u32_e32 v5, vcc_lo, 0, v5, vcc_lo
	s_cbranch_execz .LBB2_122
	s_branch .LBB2_123
.LBB2_121:
                                        ; implicit-def: $vgpr4_vgpr5
.LBB2_122:
	v_mad_u64_u32 v[4:5], null, v6, s22, 0
	s_delay_alu instid0(VALU_DEP_1) | instskip(NEXT) | instid1(VALU_DEP_1)
	v_mad_u64_u32 v[7:8], null, v6, s23, v[5:6]
	v_mov_b32_e32 v5, v7
	s_delay_alu instid0(VALU_DEP_1) | instskip(NEXT) | instid1(VALU_DEP_1)
	v_lshlrev_b64 v[4:5], 1, v[4:5]
	v_add_co_u32 v4, vcc_lo, v10, v4
	s_delay_alu instid0(VALU_DEP_2) | instskip(NEXT) | instid1(VALU_DEP_2)
	v_add_co_ci_u32_e32 v5, vcc_lo, v11, v5, vcc_lo
	v_add_co_u32 v4, vcc_lo, 0x180, v4
	s_delay_alu instid0(VALU_DEP_2)
	v_add_co_ci_u32_e32 v5, vcc_lo, 0, v5, vcc_lo
.LBB2_123:
	global_load_u16 v4, v[4:5], off
	s_waitcnt vmcnt(0)
	v_and_b32_e32 v4, 0x7fff, v4
	s_delay_alu instid0(VALU_DEP_1)
	v_cmp_ne_u16_e32 vcc_lo, 0, v4
	v_add_co_ci_u32_e32 v3, vcc_lo, 0, v3, vcc_lo
.LBB2_124:
	s_or_b32 exec_lo, exec_lo, s0
.LBB2_125:
	s_delay_alu instid0(SALU_CYCLE_1)
	s_or_b32 exec_lo, exec_lo, s2
.LBB2_126:
	v_lshlrev_b32_e32 v4, 2, v12
	s_mov_b32 s0, exec_lo
	s_delay_alu instid0(VALU_DEP_1) | instskip(NEXT) | instid1(VALU_DEP_1)
	v_and_or_b32 v5, 0x1fffff00, v4, v13
	v_lshlrev_b32_e32 v5, 2, v5
	ds_store_2addr_stride64_b32 v5, v0, v1 offset1:1
	ds_store_2addr_stride64_b32 v5, v2, v3 offset0:2 offset1:3
	s_waitcnt lgkmcnt(0)
	s_barrier
	buffer_gl0_inv
	v_cmpx_gt_u32_e32 0x100, v12
	s_cbranch_execz .LBB2_129
; %bb.127:
	ds_load_2addr_stride64_b32 v[0:1], v4 offset1:4
	ds_load_2addr_stride64_b32 v[2:3], v4 offset0:8 offset1:12
	ds_load_2addr_stride64_b32 v[5:6], v4 offset0:16 offset1:20
	ds_load_2addr_stride64_b32 v[7:8], v4 offset0:24 offset1:28
	s_waitcnt lgkmcnt(3)
	v_add_nc_u32_e32 v9, v0, v1
	ds_load_2addr_stride64_b32 v[0:1], v4 offset0:32 offset1:36
	s_waitcnt lgkmcnt(3)
	v_add3_u32 v9, v9, v2, v3
	ds_load_2addr_stride64_b32 v[2:3], v4 offset0:40 offset1:44
	s_waitcnt lgkmcnt(3)
	v_add3_u32 v9, v9, v5, v6
	;; [unrolled: 3-line block ×4, first 2 shown]
	s_waitcnt lgkmcnt(2)
	s_delay_alu instid0(VALU_DEP_1) | instskip(SKIP_1) | instid1(VALU_DEP_1)
	v_add3_u32 v0, v0, v2, v3
	s_waitcnt lgkmcnt(1)
	v_add3_u32 v1, v0, v5, v6
	v_add_nc_u32_e32 v0, s5, v12
	s_waitcnt lgkmcnt(0)
	s_delay_alu instid0(VALU_DEP_2) | instskip(NEXT) | instid1(VALU_DEP_2)
	v_add3_u32 v2, v1, v7, v8
	v_cmp_gt_i32_e32 vcc_lo, s17, v0
	ds_store_b32 v4, v2
	s_and_b32 exec_lo, exec_lo, vcc_lo
	s_cbranch_execz .LBB2_129
; %bb.128:
	v_ashrrev_i32_e32 v1, 31, v0
	s_delay_alu instid0(VALU_DEP_1) | instskip(NEXT) | instid1(VALU_DEP_1)
	v_lshlrev_b64 v[0:1], 2, v[0:1]
	v_add_co_u32 v0, vcc_lo, s6, v0
	s_delay_alu instid0(VALU_DEP_2)
	v_add_co_ci_u32_e32 v1, vcc_lo, s7, v1, vcc_lo
	global_store_b32 v[0:1], v2, off
.LBB2_129:
	s_nop 0
	s_sendmsg sendmsg(MSG_DEALLOC_VGPRS)
	s_endpgm
	.section	.rodata,"a",@progbits
	.p2align	6, 0x0
	.amdhsa_kernel _ZN9rocsparseL14nnz_kernel_rowILi64ELi16Eii18rocsparse_bfloat16EEv16rocsparse_order_T2_S3_PKT3_lPT1_
		.amdhsa_group_segment_fixed_size 16384
		.amdhsa_private_segment_fixed_size 0
		.amdhsa_kernarg_size 296
		.amdhsa_user_sgpr_count 15
		.amdhsa_user_sgpr_dispatch_ptr 0
		.amdhsa_user_sgpr_queue_ptr 0
		.amdhsa_user_sgpr_kernarg_segment_ptr 1
		.amdhsa_user_sgpr_dispatch_id 0
		.amdhsa_user_sgpr_private_segment_size 0
		.amdhsa_wavefront_size32 1
		.amdhsa_uses_dynamic_stack 0
		.amdhsa_enable_private_segment 0
		.amdhsa_system_sgpr_workgroup_id_x 1
		.amdhsa_system_sgpr_workgroup_id_y 0
		.amdhsa_system_sgpr_workgroup_id_z 0
		.amdhsa_system_sgpr_workgroup_info 0
		.amdhsa_system_vgpr_workitem_id 1
		.amdhsa_next_free_vgpr 33
		.amdhsa_next_free_sgpr 24
		.amdhsa_reserve_vcc 1
		.amdhsa_float_round_mode_32 0
		.amdhsa_float_round_mode_16_64 0
		.amdhsa_float_denorm_mode_32 3
		.amdhsa_float_denorm_mode_16_64 3
		.amdhsa_dx10_clamp 1
		.amdhsa_ieee_mode 1
		.amdhsa_fp16_overflow 0
		.amdhsa_workgroup_processor_mode 1
		.amdhsa_memory_ordered 1
		.amdhsa_forward_progress 0
		.amdhsa_shared_vgpr_count 0
		.amdhsa_exception_fp_ieee_invalid_op 0
		.amdhsa_exception_fp_denorm_src 0
		.amdhsa_exception_fp_ieee_div_zero 0
		.amdhsa_exception_fp_ieee_overflow 0
		.amdhsa_exception_fp_ieee_underflow 0
		.amdhsa_exception_fp_ieee_inexact 0
		.amdhsa_exception_int_div_zero 0
	.end_amdhsa_kernel
	.section	.text._ZN9rocsparseL14nnz_kernel_rowILi64ELi16Eii18rocsparse_bfloat16EEv16rocsparse_order_T2_S3_PKT3_lPT1_,"axG",@progbits,_ZN9rocsparseL14nnz_kernel_rowILi64ELi16Eii18rocsparse_bfloat16EEv16rocsparse_order_T2_S3_PKT3_lPT1_,comdat
.Lfunc_end2:
	.size	_ZN9rocsparseL14nnz_kernel_rowILi64ELi16Eii18rocsparse_bfloat16EEv16rocsparse_order_T2_S3_PKT3_lPT1_, .Lfunc_end2-_ZN9rocsparseL14nnz_kernel_rowILi64ELi16Eii18rocsparse_bfloat16EEv16rocsparse_order_T2_S3_PKT3_lPT1_
                                        ; -- End function
	.section	.AMDGPU.csdata,"",@progbits
; Kernel info:
; codeLenInByte = 5884
; NumSgprs: 26
; NumVgprs: 33
; ScratchSize: 0
; MemoryBound: 0
; FloatMode: 240
; IeeeMode: 1
; LDSByteSize: 16384 bytes/workgroup (compile time only)
; SGPRBlocks: 3
; VGPRBlocks: 4
; NumSGPRsForWavesPerEU: 26
; NumVGPRsForWavesPerEU: 33
; Occupancy: 16
; WaveLimiterHint : 0
; COMPUTE_PGM_RSRC2:SCRATCH_EN: 0
; COMPUTE_PGM_RSRC2:USER_SGPR: 15
; COMPUTE_PGM_RSRC2:TRAP_HANDLER: 0
; COMPUTE_PGM_RSRC2:TGID_X_EN: 1
; COMPUTE_PGM_RSRC2:TGID_Y_EN: 0
; COMPUTE_PGM_RSRC2:TGID_Z_EN: 0
; COMPUTE_PGM_RSRC2:TIDIG_COMP_CNT: 1
	.section	.text._ZN9rocsparseL14nnz_kernel_colILi256Eii18rocsparse_bfloat16EEv16rocsparse_order_T1_S3_PKT2_lPT0_,"axG",@progbits,_ZN9rocsparseL14nnz_kernel_colILi256Eii18rocsparse_bfloat16EEv16rocsparse_order_T1_S3_PKT2_lPT0_,comdat
	.globl	_ZN9rocsparseL14nnz_kernel_colILi256Eii18rocsparse_bfloat16EEv16rocsparse_order_T1_S3_PKT2_lPT0_ ; -- Begin function _ZN9rocsparseL14nnz_kernel_colILi256Eii18rocsparse_bfloat16EEv16rocsparse_order_T1_S3_PKT2_lPT0_
	.p2align	8
	.type	_ZN9rocsparseL14nnz_kernel_colILi256Eii18rocsparse_bfloat16EEv16rocsparse_order_T1_S3_PKT2_lPT0_,@function
_ZN9rocsparseL14nnz_kernel_colILi256Eii18rocsparse_bfloat16EEv16rocsparse_order_T1_S3_PKT2_lPT0_: ; @_ZN9rocsparseL14nnz_kernel_colILi256Eii18rocsparse_bfloat16EEv16rocsparse_order_T1_S3_PKT2_lPT0_
; %bb.0:
	s_clause 0x1
	s_load_b64 s[8:9], s[0:1], 0x0
	s_load_b128 s[4:7], s[0:1], 0x10
	s_mov_b32 s2, s15
	s_waitcnt lgkmcnt(0)
	s_ashr_i32 s3, s9, 31
	s_delay_alu instid0(SALU_CYCLE_1) | instskip(NEXT) | instid1(SALU_CYCLE_1)
	s_lshr_b32 s3, s3, 24
	s_add_i32 s3, s9, s3
	s_delay_alu instid0(SALU_CYCLE_1)
	s_and_b32 s10, s3, 0xffffff00
	s_cmp_eq_u32 s8, 1
	s_cbranch_scc1 .LBB3_6
; %bb.1:
	v_mov_b32_e32 v5, 0
	s_cmpk_lt_i32 s9, 0x100
	s_cbranch_scc1 .LBB3_7
; %bb.2:
	v_mad_u64_u32 v[1:2], null, s6, v0, 0
	s_ashr_i32 s3, s2, 31
	v_mov_b32_e32 v5, 0
	s_lshl_b64 s[12:13], s[2:3], 1
	s_delay_alu instid0(SALU_CYCLE_1) | instskip(SKIP_1) | instid1(VALU_DEP_2)
	s_add_u32 s3, s4, s12
	s_addc_u32 s8, s5, s13
	v_mad_u64_u32 v[3:4], null, s7, v0, v[2:3]
	s_lshl_b64 s[12:13], s[6:7], 9
	s_delay_alu instid0(VALU_DEP_1) | instskip(NEXT) | instid1(VALU_DEP_1)
	v_mov_b32_e32 v2, v3
	v_lshlrev_b64 v[1:2], 1, v[1:2]
	s_delay_alu instid0(VALU_DEP_1) | instskip(NEXT) | instid1(VALU_DEP_2)
	v_add_co_u32 v1, vcc_lo, s3, v1
	v_add_co_ci_u32_e32 v2, vcc_lo, s8, v2, vcc_lo
	s_mov_b32 s3, 0
	s_branch .LBB3_4
	.p2align	6
.LBB3_3:                                ;   in Loop: Header=BB3_4 Depth=1
	s_or_b32 exec_lo, exec_lo, s8
	v_add_co_u32 v1, vcc_lo, v1, s12
	v_add_co_ci_u32_e32 v2, vcc_lo, s13, v2, vcc_lo
	s_addk_i32 s3, 0x100
	s_delay_alu instid0(SALU_CYCLE_1)
	s_cmp_ge_i32 s3, s10
	s_cbranch_scc1 .LBB3_7
.LBB3_4:                                ; =>This Inner Loop Header: Depth=1
	v_add_nc_u32_e32 v3, s3, v0
	s_mov_b32 s8, exec_lo
	s_delay_alu instid0(VALU_DEP_1)
	v_cmpx_gt_i32_e64 s9, v3
	s_cbranch_execz .LBB3_3
; %bb.5:                                ;   in Loop: Header=BB3_4 Depth=1
	global_load_u16 v3, v[1:2], off
	s_waitcnt vmcnt(0)
	v_and_b32_e32 v3, 0x7fff, v3
	s_delay_alu instid0(VALU_DEP_1)
	v_cmp_ne_u16_e32 vcc_lo, 0, v3
	v_add_co_ci_u32_e32 v5, vcc_lo, 0, v5, vcc_lo
	s_branch .LBB3_3
.LBB3_6:
	s_mov_b32 s8, 0
                                        ; implicit-def: $vgpr5
                                        ; implicit-def: $vgpr1_vgpr2
	s_cbranch_execnz .LBB3_10
	s_branch .LBB3_16
.LBB3_7:
	v_add_nc_u32_e32 v3, s10, v0
	s_mov_b32 s11, 0
	s_mov_b32 s8, 0
                                        ; implicit-def: $vgpr1_vgpr2
	s_mov_b32 s3, exec_lo
	s_delay_alu instid0(VALU_DEP_1)
	v_cmpx_gt_i32_e64 s9, v3
	s_xor_b32 s12, exec_lo, s3
	s_cbranch_execz .LBB3_9
; %bb.8:
	v_ashrrev_i32_e32 v4, 31, v3
	v_mul_lo_u32 v6, v3, s7
	v_mad_u64_u32 v[1:2], null, v3, s6, 0
	s_ashr_i32 s3, s2, 31
	s_delay_alu instid0(VALU_DEP_3) | instskip(SKIP_4) | instid1(VALU_DEP_1)
	v_mul_lo_u32 v3, v4, s6
	s_lshl_b64 s[14:15], s[2:3], 1
	s_mov_b32 s8, exec_lo
	s_add_u32 s3, s14, s4
	s_addc_u32 s13, s15, s5
	v_add3_u32 v2, v2, v6, v3
	s_delay_alu instid0(VALU_DEP_1) | instskip(NEXT) | instid1(VALU_DEP_1)
	v_lshlrev_b64 v[1:2], 1, v[1:2]
	v_add_co_u32 v1, vcc_lo, s3, v1
	s_delay_alu instid0(VALU_DEP_2)
	v_add_co_ci_u32_e32 v2, vcc_lo, s13, v2, vcc_lo
.LBB3_9:
	s_or_b32 exec_lo, exec_lo, s12
	s_delay_alu instid0(SALU_CYCLE_1)
	s_and_b32 vcc_lo, exec_lo, s11
	s_cbranch_vccz .LBB3_16
.LBB3_10:
	v_cmp_gt_i32_e32 vcc_lo, s9, v0
	s_mul_i32 s3, s2, s7
	s_mul_hi_u32 s7, s2, s6
	s_ashr_i32 s11, s2, 31
	s_add_i32 s3, s7, s3
	v_cndmask_b32_e32 v1, 0, v0, vcc_lo
	s_mul_i32 s11, s11, s6
	s_mul_i32 s6, s2, s6
	s_add_i32 s7, s3, s11
	v_mov_b32_e32 v5, 0
	v_lshlrev_b32_e32 v1, 1, v1
	s_lshl_b64 s[6:7], s[6:7], 1
	s_delay_alu instid0(SALU_CYCLE_1) | instskip(SKIP_1) | instid1(VALU_DEP_1)
	s_add_u32 s3, s4, s6
	s_addc_u32 s4, s5, s7
	v_add_co_u32 v3, s3, s3, v1
	s_delay_alu instid0(VALU_DEP_1)
	v_add_co_ci_u32_e64 v4, null, s4, 0, s3
	s_cmpk_lt_i32 s9, 0x100
	s_mov_b32 s3, 0
	s_cbranch_scc1 .LBB3_13
; %bb.11:
	v_mov_b32_e32 v1, v3
	v_dual_mov_b32 v5, 0 :: v_dual_mov_b32 v2, v4
.LBB3_12:                               ; =>This Inner Loop Header: Depth=1
	global_load_u16 v6, v[1:2], off
	v_add_co_u32 v1, vcc_lo, 0x200, v1
	v_add_co_ci_u32_e32 v2, vcc_lo, 0, v2, vcc_lo
	s_addk_i32 s3, 0x100
	s_delay_alu instid0(SALU_CYCLE_1) | instskip(SKIP_2) | instid1(VALU_DEP_1)
	s_cmp_ge_i32 s3, s10
	s_waitcnt vmcnt(0)
	v_and_b32_e32 v6, 0x7fff, v6
	v_cmp_ne_u16_e32 vcc_lo, 0, v6
	v_add_co_ci_u32_e32 v5, vcc_lo, 0, v5, vcc_lo
	s_cbranch_scc0 .LBB3_12
.LBB3_13:
	v_add_nc_u32_e32 v1, s10, v0
	s_delay_alu instid0(VALU_DEP_1)
	v_cmp_gt_i32_e32 vcc_lo, s9, v1
                                        ; implicit-def: $vgpr1_vgpr2
	s_and_saveexec_b32 s3, vcc_lo
; %bb.14:
	s_ashr_i32 s11, s10, 31
	s_or_b32 s8, s8, exec_lo
	s_lshl_b64 s[4:5], s[10:11], 1
	s_delay_alu instid0(SALU_CYCLE_1)
	v_add_co_u32 v1, vcc_lo, v3, s4
	v_add_co_ci_u32_e32 v2, vcc_lo, s5, v4, vcc_lo
; %bb.15:
	s_or_b32 exec_lo, exec_lo, s3
.LBB3_16:
	s_and_saveexec_b32 s3, s8
	s_cbranch_execz .LBB3_18
; %bb.17:
	global_load_u16 v1, v[1:2], off
	s_waitcnt vmcnt(0)
	v_and_b32_e32 v1, 0x7fff, v1
	s_delay_alu instid0(VALU_DEP_1)
	v_cmp_ne_u16_e32 vcc_lo, 0, v1
	v_add_co_ci_u32_e32 v5, vcc_lo, 0, v5, vcc_lo
.LBB3_18:
	s_or_b32 exec_lo, exec_lo, s3
	v_lshlrev_b32_e32 v1, 2, v0
	v_cmp_eq_u32_e32 vcc_lo, 0, v0
	s_cmpk_lt_i32 s9, 0x100
	s_mov_b32 s3, -1
	ds_store_b32 v1, v5
	s_waitcnt lgkmcnt(0)
	s_cbranch_scc0 .LBB3_29
; %bb.19:
	s_cmp_gt_i32 s9, 1
	s_mov_b32 s5, 1
	s_cselect_b32 s3, -1, 0
	s_barrier
	s_and_b32 s4, vcc_lo, s3
	buffer_gl0_inv
	s_and_saveexec_b32 s3, s4
	s_cbranch_execz .LBB3_28
; %bb.20:
	v_mov_b32_e32 v2, 0
	s_add_i32 s6, s9, -2
	s_add_i32 s4, s9, -1
	s_cmp_lt_u32 s6, 7
	ds_load_b32 v2, v2
	s_cbranch_scc1 .LBB3_24
; %bb.21:
	s_and_b32 s5, s4, -8
	s_mov_b32 s7, 0
	s_mov_b32 s6, 4
	.p2align	6
.LBB3_22:                               ; =>This Inner Loop Header: Depth=1
	s_delay_alu instid0(SALU_CYCLE_1)
	v_mov_b32_e32 v9, s6
	s_mov_b32 s8, s7
	s_add_i32 s7, s7, 8
	s_add_i32 s6, s6, 32
	s_cmp_lg_u32 s5, s7
	ds_load_2addr_b32 v[3:4], v9 offset1:1
	ds_load_2addr_b32 v[5:6], v9 offset0:2 offset1:3
	ds_load_2addr_b32 v[7:8], v9 offset0:4 offset1:5
	;; [unrolled: 1-line block ×3, first 2 shown]
	s_waitcnt lgkmcnt(3)
	v_add_nc_u32_e32 v2, v2, v3
	s_delay_alu instid0(VALU_DEP_1) | instskip(SKIP_1) | instid1(VALU_DEP_1)
	v_add_nc_u32_e32 v2, v2, v4
	s_waitcnt lgkmcnt(2)
	v_add_nc_u32_e32 v2, v2, v5
	s_delay_alu instid0(VALU_DEP_1) | instskip(SKIP_1) | instid1(VALU_DEP_1)
	v_add_nc_u32_e32 v2, v2, v6
	;; [unrolled: 4-line block ×3, first 2 shown]
	s_waitcnt lgkmcnt(0)
	v_add_nc_u32_e32 v2, v2, v9
	s_delay_alu instid0(VALU_DEP_1)
	v_add_nc_u32_e32 v2, v2, v10
	s_cbranch_scc1 .LBB3_22
; %bb.23:
	s_add_i32 s5, s8, 9
.LBB3_24:
	s_and_b32 s4, s4, 7
	s_delay_alu instid0(SALU_CYCLE_1)
	s_cmp_eq_u32 s4, 0
	s_cbranch_scc1 .LBB3_27
; %bb.25:
	s_lshl_b32 s5, s5, 2
.LBB3_26:                               ; =>This Inner Loop Header: Depth=1
	s_delay_alu instid0(SALU_CYCLE_1)
	v_mov_b32_e32 v3, s5
	s_add_i32 s4, s4, -1
	s_add_i32 s5, s5, 4
	s_cmp_lg_u32 s4, 0
	ds_load_b32 v3, v3
	s_waitcnt lgkmcnt(0)
	v_add_nc_u32_e32 v2, v2, v3
	s_cbranch_scc1 .LBB3_26
.LBB3_27:
	v_mov_b32_e32 v3, 0
	s_waitcnt lgkmcnt(0)
	ds_store_b32 v3, v2
.LBB3_28:
	s_or_b32 exec_lo, exec_lo, s3
	s_mov_b32 s3, 0
	s_waitcnt lgkmcnt(0)
	s_barrier
.LBB3_29:
	s_and_b32 vcc_lo, exec_lo, s3
	s_cbranch_vccz .LBB3_47
; %bb.30:
	s_mov_b32 s3, exec_lo
	s_barrier
	buffer_gl0_inv
	v_cmpx_gt_u32_e32 0x80, v0
	s_cbranch_execz .LBB3_32
; %bb.31:
	ds_load_2addr_stride64_b32 v[2:3], v1 offset1:2
	s_waitcnt lgkmcnt(0)
	v_add_nc_u32_e32 v2, v2, v3
	ds_store_b32 v1, v2
.LBB3_32:
	s_or_b32 exec_lo, exec_lo, s3
	s_delay_alu instid0(SALU_CYCLE_1)
	s_mov_b32 s3, exec_lo
	s_waitcnt lgkmcnt(0)
	s_barrier
	buffer_gl0_inv
	v_cmpx_gt_u32_e32 64, v0
	s_cbranch_execz .LBB3_34
; %bb.33:
	ds_load_2addr_stride64_b32 v[2:3], v1 offset1:1
	s_waitcnt lgkmcnt(0)
	v_add_nc_u32_e32 v2, v2, v3
	ds_store_b32 v1, v2
.LBB3_34:
	s_or_b32 exec_lo, exec_lo, s3
	s_delay_alu instid0(SALU_CYCLE_1)
	s_mov_b32 s3, exec_lo
	s_waitcnt lgkmcnt(0)
	s_barrier
	buffer_gl0_inv
	v_cmpx_gt_u32_e32 32, v0
	s_cbranch_execz .LBB3_36
; %bb.35:
	ds_load_2addr_b32 v[2:3], v1 offset1:32
	s_waitcnt lgkmcnt(0)
	v_add_nc_u32_e32 v2, v2, v3
	ds_store_b32 v1, v2
.LBB3_36:
	s_or_b32 exec_lo, exec_lo, s3
	s_delay_alu instid0(SALU_CYCLE_1)
	s_mov_b32 s3, exec_lo
	s_waitcnt lgkmcnt(0)
	s_barrier
	buffer_gl0_inv
	v_cmpx_gt_u32_e32 16, v0
	s_cbranch_execz .LBB3_38
; %bb.37:
	ds_load_2addr_b32 v[2:3], v1 offset1:16
	s_waitcnt lgkmcnt(0)
	v_add_nc_u32_e32 v2, v2, v3
	ds_store_b32 v1, v2
.LBB3_38:
	;; [unrolled: 14-line block ×5, first 2 shown]
	s_or_b32 exec_lo, exec_lo, s3
	s_delay_alu instid0(SALU_CYCLE_1)
	s_mov_b32 s3, exec_lo
	s_waitcnt lgkmcnt(0)
	s_barrier
	buffer_gl0_inv
	v_cmpx_eq_u32_e32 0, v0
	s_cbranch_execz .LBB3_46
; %bb.45:
	v_mov_b32_e32 v3, 0
	ds_load_b64 v[1:2], v3
	s_waitcnt lgkmcnt(0)
	v_add_nc_u32_e32 v1, v1, v2
	ds_store_b32 v3, v1
.LBB3_46:
	s_or_b32 exec_lo, exec_lo, s3
	s_waitcnt lgkmcnt(0)
	s_barrier
.LBB3_47:
	buffer_gl0_inv
	s_mov_b32 s3, exec_lo
	v_cmpx_eq_u32_e32 0, v0
	s_cbranch_execz .LBB3_49
; %bb.48:
	v_mov_b32_e32 v0, 0
	s_load_b64 s[0:1], s[0:1], 0x20
	s_ashr_i32 s3, s2, 31
	s_delay_alu instid0(SALU_CYCLE_1)
	s_lshl_b64 s[2:3], s[2:3], 2
	ds_load_b32 v1, v0
	s_waitcnt lgkmcnt(0)
	s_add_u32 s0, s0, s2
	s_addc_u32 s1, s1, s3
	global_store_b32 v0, v1, s[0:1]
.LBB3_49:
	s_nop 0
	s_sendmsg sendmsg(MSG_DEALLOC_VGPRS)
	s_endpgm
	.section	.rodata,"a",@progbits
	.p2align	6, 0x0
	.amdhsa_kernel _ZN9rocsparseL14nnz_kernel_colILi256Eii18rocsparse_bfloat16EEv16rocsparse_order_T1_S3_PKT2_lPT0_
		.amdhsa_group_segment_fixed_size 1024
		.amdhsa_private_segment_fixed_size 0
		.amdhsa_kernarg_size 40
		.amdhsa_user_sgpr_count 15
		.amdhsa_user_sgpr_dispatch_ptr 0
		.amdhsa_user_sgpr_queue_ptr 0
		.amdhsa_user_sgpr_kernarg_segment_ptr 1
		.amdhsa_user_sgpr_dispatch_id 0
		.amdhsa_user_sgpr_private_segment_size 0
		.amdhsa_wavefront_size32 1
		.amdhsa_uses_dynamic_stack 0
		.amdhsa_enable_private_segment 0
		.amdhsa_system_sgpr_workgroup_id_x 1
		.amdhsa_system_sgpr_workgroup_id_y 0
		.amdhsa_system_sgpr_workgroup_id_z 0
		.amdhsa_system_sgpr_workgroup_info 0
		.amdhsa_system_vgpr_workitem_id 0
		.amdhsa_next_free_vgpr 11
		.amdhsa_next_free_sgpr 16
		.amdhsa_reserve_vcc 1
		.amdhsa_float_round_mode_32 0
		.amdhsa_float_round_mode_16_64 0
		.amdhsa_float_denorm_mode_32 3
		.amdhsa_float_denorm_mode_16_64 3
		.amdhsa_dx10_clamp 1
		.amdhsa_ieee_mode 1
		.amdhsa_fp16_overflow 0
		.amdhsa_workgroup_processor_mode 1
		.amdhsa_memory_ordered 1
		.amdhsa_forward_progress 0
		.amdhsa_shared_vgpr_count 0
		.amdhsa_exception_fp_ieee_invalid_op 0
		.amdhsa_exception_fp_denorm_src 0
		.amdhsa_exception_fp_ieee_div_zero 0
		.amdhsa_exception_fp_ieee_overflow 0
		.amdhsa_exception_fp_ieee_underflow 0
		.amdhsa_exception_fp_ieee_inexact 0
		.amdhsa_exception_int_div_zero 0
	.end_amdhsa_kernel
	.section	.text._ZN9rocsparseL14nnz_kernel_colILi256Eii18rocsparse_bfloat16EEv16rocsparse_order_T1_S3_PKT2_lPT0_,"axG",@progbits,_ZN9rocsparseL14nnz_kernel_colILi256Eii18rocsparse_bfloat16EEv16rocsparse_order_T1_S3_PKT2_lPT0_,comdat
.Lfunc_end3:
	.size	_ZN9rocsparseL14nnz_kernel_colILi256Eii18rocsparse_bfloat16EEv16rocsparse_order_T1_S3_PKT2_lPT0_, .Lfunc_end3-_ZN9rocsparseL14nnz_kernel_colILi256Eii18rocsparse_bfloat16EEv16rocsparse_order_T1_S3_PKT2_lPT0_
                                        ; -- End function
	.section	.AMDGPU.csdata,"",@progbits
; Kernel info:
; codeLenInByte = 1568
; NumSgprs: 18
; NumVgprs: 11
; ScratchSize: 0
; MemoryBound: 0
; FloatMode: 240
; IeeeMode: 1
; LDSByteSize: 1024 bytes/workgroup (compile time only)
; SGPRBlocks: 2
; VGPRBlocks: 1
; NumSGPRsForWavesPerEU: 18
; NumVGPRsForWavesPerEU: 11
; Occupancy: 16
; WaveLimiterHint : 0
; COMPUTE_PGM_RSRC2:SCRATCH_EN: 0
; COMPUTE_PGM_RSRC2:USER_SGPR: 15
; COMPUTE_PGM_RSRC2:TRAP_HANDLER: 0
; COMPUTE_PGM_RSRC2:TGID_X_EN: 1
; COMPUTE_PGM_RSRC2:TGID_Y_EN: 0
; COMPUTE_PGM_RSRC2:TGID_Z_EN: 0
; COMPUTE_PGM_RSRC2:TIDIG_COMP_CNT: 0
	.section	.text._ZN9rocsparseL14nnz_kernel_rowILi64ELi16EiifEEv16rocsparse_order_T2_S2_PKT3_lPT1_,"axG",@progbits,_ZN9rocsparseL14nnz_kernel_rowILi64ELi16EiifEEv16rocsparse_order_T2_S2_PKT3_lPT1_,comdat
	.globl	_ZN9rocsparseL14nnz_kernel_rowILi64ELi16EiifEEv16rocsparse_order_T2_S2_PKT3_lPT1_ ; -- Begin function _ZN9rocsparseL14nnz_kernel_rowILi64ELi16EiifEEv16rocsparse_order_T2_S2_PKT3_lPT1_
	.p2align	8
	.type	_ZN9rocsparseL14nnz_kernel_rowILi64ELi16EiifEEv16rocsparse_order_T2_S2_PKT3_lPT1_,@function
_ZN9rocsparseL14nnz_kernel_rowILi64ELi16EiifEEv16rocsparse_order_T2_S2_PKT3_lPT1_: ; @_ZN9rocsparseL14nnz_kernel_rowILi64ELi16EiifEEv16rocsparse_order_T2_S2_PKT3_lPT1_
; %bb.0:
	s_clause 0x1
	s_load_b32 s2, s[0:1], 0x34
	s_load_b256 s[16:23], s[0:1], 0x0
	s_mov_b32 s8, 0
	s_load_b64 s[6:7], s[0:1], 0x20
	s_mov_b32 s9, s8
	s_mov_b32 s10, s8
	;; [unrolled: 1-line block ×3, first 2 shown]
	v_and_b32_e32 v1, 0x3ff, v0
	v_bfe_u32 v0, v0, 10, 10
	s_lshl_b32 s5, s15, 8
	s_mov_b32 s13, exec_lo
	s_waitcnt lgkmcnt(0)
	s_and_b32 s2, s2, 0xffff
	s_ashr_i32 s0, s18, 31
	v_mad_u32_u24 v12, v0, s2, v1
	s_lshr_b32 s0, s0, 26
	s_delay_alu instid0(SALU_CYCLE_1) | instskip(NEXT) | instid1(VALU_DEP_1)
	s_add_i32 s12, s18, s0
	v_lshrrev_b32_e32 v0, 4, v12
	v_and_b32_e32 v13, 63, v12
	s_and_not1_b32 s12, s12, 63
	s_delay_alu instid0(VALU_DEP_2) | instskip(SKIP_1) | instid1(VALU_DEP_3)
	v_and_b32_e32 v8, 0x7ffffc, v0
	v_dual_mov_b32 v0, s8 :: v_dual_mov_b32 v1, s9
	v_or_b32_e32 v10, s5, v13
	v_dual_mov_b32 v2, s10 :: v_dual_mov_b32 v3, s11
	s_delay_alu instid0(VALU_DEP_2)
	v_or_b32_e32 v16, 64, v10
	v_or_b32_e32 v15, 0x80, v10
	v_or_b32_e32 v14, 0xc0, v10
	v_cmpx_gt_i32_e64 s12, v8
	s_cbranch_execz .LBB4_28
; %bb.1:
	v_lshrrev_b32_e32 v27, 6, v12
	v_cmp_gt_i32_e64 s0, s17, v10
	v_cmp_gt_i32_e64 s1, s17, v16
	;; [unrolled: 1-line block ×4, first 2 shown]
	v_lshlrev_b32_e32 v28, 2, v27
	s_cmp_lg_u32 s16, 1
	s_delay_alu instid0(VALU_DEP_1) | instskip(SKIP_1) | instid1(VALU_DEP_2)
	v_or_b32_e32 v9, 3, v28
	v_or_b32_e32 v31, 2, v28
	v_mad_u64_u32 v[4:5], null, s22, v9, 0
	v_add_nc_u32_e32 v0, s5, v13
	s_delay_alu instid0(VALU_DEP_3) | instskip(NEXT) | instid1(VALU_DEP_2)
	v_mad_u64_u32 v[21:22], null, s22, v31, 0
	v_ashrrev_i32_e32 v1, 31, v0
	s_delay_alu instid0(VALU_DEP_1)
	v_mul_lo_u32 v24, s22, v1
	v_lshlrev_b64 v[6:7], 2, v[0:1]
	v_mov_b32_e32 v1, v5
	v_mul_lo_u32 v11, s23, v0
	v_mad_u64_u32 v[2:3], null, s22, v0, 0
	v_add_nc_u32_e32 v23, 64, v0
	s_delay_alu instid0(VALU_DEP_1) | instskip(NEXT) | instid1(VALU_DEP_3)
	v_ashrrev_i32_e32 v25, 31, v23
	v_add3_u32 v3, v3, v24, v11
	v_mul_lo_u32 v26, s23, v23
	v_mad_u64_u32 v[17:18], null, s23, v9, v[1:2]
	v_mad_u64_u32 v[19:20], null, s22, v23, 0
	v_mul_lo_u32 v9, s22, v25
	v_lshlrev_b64 v[2:3], 2, v[2:3]
	v_dual_mov_b32 v1, v22 :: v_dual_add_nc_u32 v30, 0x80, v0
	v_mov_b32_e32 v5, v17
	v_mad_u64_u32 v[23:24], null, s22, v28, s[22:23]
	v_add3_u32 v20, v20, v9, v26
	s_delay_alu instid0(VALU_DEP_4)
	v_mad_u64_u32 v[25:26], null, s23, v31, v[1:2]
	v_lshlrev_b32_e32 v29, 4, v27
	v_lshlrev_b64 v[4:5], 2, v[4:5]
	v_ashrrev_i32_e32 v32, 31, v30
	v_mul_lo_u32 v31, s23, v30
	v_mov_b32_e32 v22, v25
	v_add_co_u32 v9, vcc_lo, v2, v29
	v_add_co_ci_u32_e32 v11, vcc_lo, 0, v3, vcc_lo
	v_add_co_u32 v17, vcc_lo, v4, v6
	v_add_co_ci_u32_e32 v18, vcc_lo, v5, v7, vcc_lo
	v_lshlrev_b64 v[1:2], 2, v[19:20]
	v_mad_u64_u32 v[4:5], null, s22, v30, 0
	v_mul_lo_u32 v26, s22, v32
	v_mov_b32_e32 v3, v24
	s_delay_alu instid0(VALU_DEP_4) | instskip(SKIP_1) | instid1(VALU_DEP_3)
	v_add_co_u32 v19, vcc_lo, v1, v29
	v_add_co_ci_u32_e32 v20, vcc_lo, 0, v2, vcc_lo
	v_mad_u64_u32 v[24:25], null, s23, v28, v[3:4]
	v_add_nc_u32_e32 v28, 0xc0, v0
	v_lshlrev_b64 v[2:3], 2, v[21:22]
	v_add3_u32 v5, v5, v26, v31
	v_mad_u64_u32 v[0:1], null, s22, v27, 0
	s_delay_alu instid0(VALU_DEP_4)
	v_ashrrev_i32_e32 v25, 31, v28
	v_mul_lo_u32 v31, s23, v28
	v_add_co_u32 v21, vcc_lo, v2, v6
	v_add_co_ci_u32_e32 v22, vcc_lo, v3, v7, vcc_lo
	v_lshlrev_b64 v[2:3], 2, v[4:5]
	v_mul_lo_u32 v30, s22, v25
	v_mad_u64_u32 v[25:26], null, s22, v28, 0
	s_delay_alu instid0(VALU_DEP_3) | instskip(SKIP_2) | instid1(VALU_DEP_4)
	v_mad_u64_u32 v[4:5], null, s23, v27, v[1:2]
	v_lshlrev_b64 v[27:28], 2, v[23:24]
	v_add_co_u32 v23, vcc_lo, v2, v29
	v_add3_u32 v26, v26, v30, v31
	v_add_co_ci_u32_e32 v24, vcc_lo, 0, v3, vcc_lo
	v_mov_b32_e32 v1, v4
	s_delay_alu instid0(VALU_DEP_3) | instskip(SKIP_1) | instid1(VALU_DEP_3)
	v_lshlrev_b64 v[2:3], 2, v[25:26]
	v_add_co_u32 v25, vcc_lo, v27, v6
	v_lshlrev_b64 v[0:1], 4, v[0:1]
	v_add_co_ci_u32_e32 v26, vcc_lo, v28, v7, vcc_lo
	s_delay_alu instid0(VALU_DEP_4) | instskip(SKIP_1) | instid1(VALU_DEP_4)
	v_add_co_u32 v27, vcc_lo, v2, v29
	v_add_co_ci_u32_e32 v28, vcc_lo, 0, v3, vcc_lo
	v_add_co_u32 v29, vcc_lo, v0, v6
	v_add_co_ci_u32_e32 v30, vcc_lo, v1, v7, vcc_lo
	v_mov_b32_e32 v0, s8
	v_dual_mov_b32 v2, s10 :: v_dual_mov_b32 v1, s9
	v_mov_b32_e32 v3, s11
	s_cselect_b32 s9, -1, 0
	s_lshl_b64 s[10:11], s[22:23], 8
	s_branch .LBB4_4
.LBB4_2:                                ;   in Loop: Header=BB4_4 Depth=1
	s_delay_alu instid0(VALU_DEP_1) | instskip(NEXT) | instid1(VALU_DEP_2)
	v_dual_mov_b32 v0, v4 :: v_dual_mov_b32 v1, v5
	v_dual_mov_b32 v2, v6 :: v_dual_mov_b32 v3, v7
.LBB4_3:                                ;   in Loop: Header=BB4_4 Depth=1
	s_or_b32 exec_lo, exec_lo, s4
	v_add_co_u32 v9, vcc_lo, 0x100, v9
	v_add_co_ci_u32_e32 v11, vcc_lo, 0, v11, vcc_lo
	v_add_co_u32 v17, vcc_lo, v17, s10
	v_add_co_ci_u32_e32 v18, vcc_lo, s11, v18, vcc_lo
	;; [unrolled: 2-line block ×5, first 2 shown]
	v_add_co_u32 v25, vcc_lo, v25, s10
	v_add_nc_u32_e32 v8, 64, v8
	v_add_co_ci_u32_e32 v26, vcc_lo, s11, v26, vcc_lo
	v_add_co_u32 v27, vcc_lo, 0x100, v27
	v_add_co_ci_u32_e32 v28, vcc_lo, 0, v28, vcc_lo
	s_delay_alu instid0(VALU_DEP_4) | instskip(SKIP_1) | instid1(VALU_DEP_1)
	v_cmp_le_i32_e32 vcc_lo, s12, v8
	v_add_co_u32 v29, s4, v29, s10
	v_add_co_ci_u32_e64 v30, s4, s11, v30, s4
	s_or_b32 s8, vcc_lo, s8
	s_delay_alu instid0(SALU_CYCLE_1)
	s_and_not1_b32 exec_lo, exec_lo, s8
	s_cbranch_execz .LBB4_27
.LBB4_4:                                ; =>This Inner Loop Header: Depth=1
	s_and_saveexec_b32 s4, s0
	s_cbranch_execnz .LBB4_8
; %bb.5:                                ;   in Loop: Header=BB4_4 Depth=1
	s_or_b32 exec_lo, exec_lo, s4
	s_and_saveexec_b32 s4, s1
	s_cbranch_execnz .LBB4_13
.LBB4_6:                                ;   in Loop: Header=BB4_4 Depth=1
	s_or_b32 exec_lo, exec_lo, s4
	s_and_saveexec_b32 s4, s2
	s_cbranch_execnz .LBB4_18
.LBB4_7:                                ;   in Loop: Header=BB4_4 Depth=1
	s_or_b32 exec_lo, exec_lo, s4
	s_and_saveexec_b32 s4, s3
	s_cbranch_execz .LBB4_3
	s_branch .LBB4_23
.LBB4_8:                                ;   in Loop: Header=BB4_4 Depth=1
	v_add_nc_u32_e32 v31, 1, v0
	s_and_not1_b32 vcc_lo, exec_lo, s9
	s_cbranch_vccnz .LBB4_10
; %bb.9:                                ;   in Loop: Header=BB4_4 Depth=1
	v_add_co_u32 v4, vcc_lo, s20, v9
	v_add_co_ci_u32_e32 v5, vcc_lo, s21, v11, vcc_lo
	global_load_b128 v[4:7], v[4:5], off
	s_waitcnt vmcnt(0)
	v_cmp_neq_f32_e32 vcc_lo, 0, v4
	v_cndmask_b32_e32 v4, v0, v31, vcc_lo
	v_cmp_neq_f32_e32 vcc_lo, 0, v5
	s_delay_alu instid0(VALU_DEP_2) | instskip(NEXT) | instid1(VALU_DEP_1)
	v_add_nc_u32_e32 v32, 1, v4
	v_cndmask_b32_e32 v4, v4, v32, vcc_lo
	v_cmp_neq_f32_e32 vcc_lo, 0, v6
	s_delay_alu instid0(VALU_DEP_2) | instskip(NEXT) | instid1(VALU_DEP_1)
	v_dual_mov_b32 v6, v2 :: v_dual_add_nc_u32 v5, 1, v4
	v_cndmask_b32_e32 v4, v4, v5, vcc_lo
	v_cmp_neq_f32_e32 vcc_lo, 0, v7
	v_mov_b32_e32 v5, v1
	s_delay_alu instid0(VALU_DEP_3) | instskip(NEXT) | instid1(VALU_DEP_1)
	v_dual_mov_b32 v7, v3 :: v_dual_add_nc_u32 v32, 1, v4
	v_cndmask_b32_e32 v4, v4, v32, vcc_lo
	s_cbranch_execz .LBB4_11
	s_branch .LBB4_12
.LBB4_10:                               ;   in Loop: Header=BB4_4 Depth=1
                                        ; implicit-def: $vgpr4_vgpr5_vgpr6_vgpr7
.LBB4_11:                               ;   in Loop: Header=BB4_4 Depth=1
	v_add_co_u32 v4, vcc_lo, s20, v29
	v_add_co_ci_u32_e32 v5, vcc_lo, s21, v30, vcc_lo
	global_load_b32 v6, v[4:5], off
	v_add_co_u32 v4, vcc_lo, s20, v25
	v_add_co_ci_u32_e32 v5, vcc_lo, s21, v26, vcc_lo
	global_load_b32 v7, v[4:5], off
	;; [unrolled: 3-line block ×4, first 2 shown]
	s_waitcnt vmcnt(3)
	v_cmp_neq_f32_e32 vcc_lo, 0, v6
	v_cndmask_b32_e32 v0, v0, v31, vcc_lo
	s_waitcnt vmcnt(2)
	v_cmp_neq_f32_e32 vcc_lo, 0, v7
	s_delay_alu instid0(VALU_DEP_2) | instskip(NEXT) | instid1(VALU_DEP_1)
	v_add_nc_u32_e32 v5, 1, v0
	v_cndmask_b32_e32 v0, v0, v5, vcc_lo
	s_waitcnt vmcnt(1)
	v_cmp_neq_f32_e32 vcc_lo, 0, v32
	s_delay_alu instid0(VALU_DEP_2) | instskip(NEXT) | instid1(VALU_DEP_1)
	v_add_nc_u32_e32 v5, 1, v0
	;; [unrolled: 5-line block ×3, first 2 shown]
	v_cndmask_b32_e32 v0, v0, v5, vcc_lo
	v_dual_mov_b32 v7, v3 :: v_dual_mov_b32 v6, v2
	s_delay_alu instid0(VALU_DEP_2)
	v_dual_mov_b32 v5, v1 :: v_dual_mov_b32 v4, v0
.LBB4_12:                               ;   in Loop: Header=BB4_4 Depth=1
	s_delay_alu instid0(VALU_DEP_1) | instskip(NEXT) | instid1(VALU_DEP_3)
	v_dual_mov_b32 v0, v4 :: v_dual_mov_b32 v1, v5
	v_dual_mov_b32 v2, v6 :: v_dual_mov_b32 v3, v7
	s_or_b32 exec_lo, exec_lo, s4
	s_and_saveexec_b32 s4, s1
	s_cbranch_execz .LBB4_6
.LBB4_13:                               ;   in Loop: Header=BB4_4 Depth=1
	v_add_nc_u32_e32 v31, 1, v1
	s_and_not1_b32 vcc_lo, exec_lo, s9
	s_cbranch_vccnz .LBB4_15
; %bb.14:                               ;   in Loop: Header=BB4_4 Depth=1
	v_add_co_u32 v4, vcc_lo, s20, v19
	v_add_co_ci_u32_e32 v5, vcc_lo, s21, v20, vcc_lo
	global_load_b128 v[4:7], v[4:5], off
	s_waitcnt vmcnt(0)
	v_cmp_neq_f32_e32 vcc_lo, 0, v4
	v_cndmask_b32_e32 v4, v1, v31, vcc_lo
	v_cmp_neq_f32_e32 vcc_lo, 0, v5
	s_delay_alu instid0(VALU_DEP_2) | instskip(NEXT) | instid1(VALU_DEP_1)
	v_add_nc_u32_e32 v32, 1, v4
	v_cndmask_b32_e32 v4, v4, v32, vcc_lo
	v_cmp_neq_f32_e32 vcc_lo, 0, v6
	s_delay_alu instid0(VALU_DEP_2) | instskip(NEXT) | instid1(VALU_DEP_1)
	v_add_nc_u32_e32 v5, 1, v4
	v_cndmask_b32_e32 v5, v4, v5, vcc_lo
	v_mov_b32_e32 v4, v0
	v_cmp_neq_f32_e32 vcc_lo, 0, v7
	s_delay_alu instid0(VALU_DEP_3) | instskip(NEXT) | instid1(VALU_DEP_1)
	v_dual_mov_b32 v7, v3 :: v_dual_add_nc_u32 v32, 1, v5
	v_dual_mov_b32 v6, v2 :: v_dual_cndmask_b32 v5, v5, v32
	s_cbranch_execz .LBB4_16
	s_branch .LBB4_17
.LBB4_15:                               ;   in Loop: Header=BB4_4 Depth=1
                                        ; implicit-def: $vgpr4_vgpr5_vgpr6_vgpr7
.LBB4_16:                               ;   in Loop: Header=BB4_4 Depth=1
	v_add_co_u32 v4, vcc_lo, s20, v29
	v_add_co_ci_u32_e32 v5, vcc_lo, s21, v30, vcc_lo
	global_load_b32 v6, v[4:5], off offset:256
	v_add_co_u32 v4, vcc_lo, s20, v25
	v_add_co_ci_u32_e32 v5, vcc_lo, s21, v26, vcc_lo
	global_load_b32 v7, v[4:5], off offset:256
	;; [unrolled: 3-line block ×4, first 2 shown]
	s_waitcnt vmcnt(3)
	v_cmp_neq_f32_e32 vcc_lo, 0, v6
	v_cndmask_b32_e32 v1, v1, v31, vcc_lo
	s_waitcnt vmcnt(2)
	v_cmp_neq_f32_e32 vcc_lo, 0, v7
	s_delay_alu instid0(VALU_DEP_2) | instskip(NEXT) | instid1(VALU_DEP_1)
	v_add_nc_u32_e32 v5, 1, v1
	v_cndmask_b32_e32 v1, v1, v5, vcc_lo
	s_waitcnt vmcnt(1)
	v_cmp_neq_f32_e32 vcc_lo, 0, v32
	s_delay_alu instid0(VALU_DEP_2) | instskip(NEXT) | instid1(VALU_DEP_1)
	v_add_nc_u32_e32 v5, 1, v1
	;; [unrolled: 5-line block ×3, first 2 shown]
	v_cndmask_b32_e32 v1, v1, v5, vcc_lo
	v_dual_mov_b32 v7, v3 :: v_dual_mov_b32 v4, v0
	s_delay_alu instid0(VALU_DEP_2)
	v_dual_mov_b32 v6, v2 :: v_dual_mov_b32 v5, v1
.LBB4_17:                               ;   in Loop: Header=BB4_4 Depth=1
	s_delay_alu instid0(VALU_DEP_1) | instskip(NEXT) | instid1(VALU_DEP_2)
	v_dual_mov_b32 v0, v4 :: v_dual_mov_b32 v1, v5
	v_dual_mov_b32 v2, v6 :: v_dual_mov_b32 v3, v7
	s_or_b32 exec_lo, exec_lo, s4
	s_and_saveexec_b32 s4, s2
	s_cbranch_execz .LBB4_7
.LBB4_18:                               ;   in Loop: Header=BB4_4 Depth=1
	s_delay_alu instid0(VALU_DEP_1)
	v_add_nc_u32_e32 v31, 1, v2
	s_and_not1_b32 vcc_lo, exec_lo, s9
	s_cbranch_vccnz .LBB4_20
; %bb.19:                               ;   in Loop: Header=BB4_4 Depth=1
	v_add_co_u32 v4, vcc_lo, s20, v23
	v_add_co_ci_u32_e32 v5, vcc_lo, s21, v24, vcc_lo
	global_load_b128 v[4:7], v[4:5], off
	s_waitcnt vmcnt(0)
	v_cmp_neq_f32_e32 vcc_lo, 0, v4
	v_cndmask_b32_e32 v4, v2, v31, vcc_lo
	v_cmp_neq_f32_e32 vcc_lo, 0, v5
	s_delay_alu instid0(VALU_DEP_2) | instskip(NEXT) | instid1(VALU_DEP_1)
	v_add_nc_u32_e32 v32, 1, v4
	v_cndmask_b32_e32 v4, v4, v32, vcc_lo
	v_cmp_neq_f32_e32 vcc_lo, 0, v6
	s_delay_alu instid0(VALU_DEP_2) | instskip(NEXT) | instid1(VALU_DEP_1)
	v_add_nc_u32_e32 v5, 1, v4
	v_cndmask_b32_e32 v6, v4, v5, vcc_lo
	v_mov_b32_e32 v4, v0
	v_cmp_neq_f32_e32 vcc_lo, 0, v7
	v_mov_b32_e32 v5, v1
	s_delay_alu instid0(VALU_DEP_4) | instskip(NEXT) | instid1(VALU_DEP_1)
	v_dual_mov_b32 v7, v3 :: v_dual_add_nc_u32 v32, 1, v6
	v_cndmask_b32_e32 v6, v6, v32, vcc_lo
	s_cbranch_execz .LBB4_21
	s_branch .LBB4_22
.LBB4_20:                               ;   in Loop: Header=BB4_4 Depth=1
                                        ; implicit-def: $vgpr4_vgpr5_vgpr6_vgpr7
.LBB4_21:                               ;   in Loop: Header=BB4_4 Depth=1
	v_add_co_u32 v4, vcc_lo, s20, v29
	v_add_co_ci_u32_e32 v5, vcc_lo, s21, v30, vcc_lo
	global_load_b32 v6, v[4:5], off offset:512
	v_add_co_u32 v4, vcc_lo, s20, v25
	v_add_co_ci_u32_e32 v5, vcc_lo, s21, v26, vcc_lo
	global_load_b32 v7, v[4:5], off offset:512
	;; [unrolled: 3-line block ×4, first 2 shown]
	s_waitcnt vmcnt(3)
	v_cmp_neq_f32_e32 vcc_lo, 0, v6
	v_cndmask_b32_e32 v2, v2, v31, vcc_lo
	s_waitcnt vmcnt(2)
	v_cmp_neq_f32_e32 vcc_lo, 0, v7
	s_delay_alu instid0(VALU_DEP_2) | instskip(NEXT) | instid1(VALU_DEP_1)
	v_add_nc_u32_e32 v5, 1, v2
	v_cndmask_b32_e32 v2, v2, v5, vcc_lo
	s_waitcnt vmcnt(1)
	v_cmp_neq_f32_e32 vcc_lo, 0, v32
	s_delay_alu instid0(VALU_DEP_2) | instskip(NEXT) | instid1(VALU_DEP_1)
	v_add_nc_u32_e32 v5, 1, v2
	;; [unrolled: 5-line block ×3, first 2 shown]
	v_cndmask_b32_e32 v2, v2, v5, vcc_lo
	v_dual_mov_b32 v7, v3 :: v_dual_mov_b32 v4, v0
	s_delay_alu instid0(VALU_DEP_2)
	v_dual_mov_b32 v5, v1 :: v_dual_mov_b32 v6, v2
.LBB4_22:                               ;   in Loop: Header=BB4_4 Depth=1
	s_delay_alu instid0(VALU_DEP_1) | instskip(NEXT) | instid1(VALU_DEP_2)
	v_dual_mov_b32 v0, v4 :: v_dual_mov_b32 v1, v5
	v_dual_mov_b32 v2, v6 :: v_dual_mov_b32 v3, v7
	s_or_b32 exec_lo, exec_lo, s4
	s_and_saveexec_b32 s4, s3
	s_cbranch_execz .LBB4_3
.LBB4_23:                               ;   in Loop: Header=BB4_4 Depth=1
	s_delay_alu instid0(VALU_DEP_1)
	v_add_nc_u32_e32 v31, 1, v3
	s_and_not1_b32 vcc_lo, exec_lo, s9
	s_cbranch_vccnz .LBB4_25
; %bb.24:                               ;   in Loop: Header=BB4_4 Depth=1
	v_add_co_u32 v4, vcc_lo, s20, v27
	v_add_co_ci_u32_e32 v5, vcc_lo, s21, v28, vcc_lo
	global_load_b128 v[4:7], v[4:5], off
	s_waitcnt vmcnt(0)
	v_cmp_neq_f32_e32 vcc_lo, 0, v4
	v_cndmask_b32_e32 v4, v3, v31, vcc_lo
	v_cmp_neq_f32_e32 vcc_lo, 0, v5
	s_delay_alu instid0(VALU_DEP_2) | instskip(NEXT) | instid1(VALU_DEP_1)
	v_add_nc_u32_e32 v32, 1, v4
	v_cndmask_b32_e32 v4, v4, v32, vcc_lo
	v_cmp_neq_f32_e32 vcc_lo, 0, v6
	s_delay_alu instid0(VALU_DEP_2) | instskip(NEXT) | instid1(VALU_DEP_1)
	v_add_nc_u32_e32 v5, 1, v4
	v_cndmask_b32_e32 v6, v4, v5, vcc_lo
	v_mov_b32_e32 v4, v0
	v_cmp_neq_f32_e32 vcc_lo, 0, v7
	s_delay_alu instid0(VALU_DEP_3) | instskip(NEXT) | instid1(VALU_DEP_1)
	v_dual_mov_b32 v5, v1 :: v_dual_add_nc_u32 v32, 1, v6
	v_cndmask_b32_e32 v7, v6, v32, vcc_lo
	v_mov_b32_e32 v6, v2
	s_cbranch_execnz .LBB4_2
	s_branch .LBB4_26
.LBB4_25:                               ;   in Loop: Header=BB4_4 Depth=1
                                        ; implicit-def: $vgpr4_vgpr5_vgpr6_vgpr7
.LBB4_26:                               ;   in Loop: Header=BB4_4 Depth=1
	v_add_co_u32 v4, vcc_lo, s20, v29
	v_add_co_ci_u32_e32 v5, vcc_lo, s21, v30, vcc_lo
	global_load_b32 v6, v[4:5], off offset:768
	v_add_co_u32 v4, vcc_lo, s20, v25
	v_add_co_ci_u32_e32 v5, vcc_lo, s21, v26, vcc_lo
	global_load_b32 v7, v[4:5], off offset:768
	;; [unrolled: 3-line block ×4, first 2 shown]
	s_waitcnt vmcnt(3)
	v_cmp_neq_f32_e32 vcc_lo, 0, v6
	v_cndmask_b32_e32 v3, v3, v31, vcc_lo
	s_waitcnt vmcnt(2)
	v_cmp_neq_f32_e32 vcc_lo, 0, v7
	s_delay_alu instid0(VALU_DEP_2) | instskip(NEXT) | instid1(VALU_DEP_1)
	v_add_nc_u32_e32 v5, 1, v3
	v_cndmask_b32_e32 v3, v3, v5, vcc_lo
	s_waitcnt vmcnt(1)
	v_cmp_neq_f32_e32 vcc_lo, 0, v32
	s_delay_alu instid0(VALU_DEP_2) | instskip(NEXT) | instid1(VALU_DEP_1)
	v_add_nc_u32_e32 v5, 1, v3
	;; [unrolled: 5-line block ×3, first 2 shown]
	v_cndmask_b32_e32 v3, v3, v5, vcc_lo
	s_delay_alu instid0(VALU_DEP_1)
	v_dual_mov_b32 v7, v3 :: v_dual_mov_b32 v4, v0
	v_dual_mov_b32 v6, v2 :: v_dual_mov_b32 v5, v1
	s_branch .LBB4_2
.LBB4_27:
	s_or_b32 exec_lo, exec_lo, s8
.LBB4_28:
	s_delay_alu instid0(SALU_CYCLE_1) | instskip(SKIP_1) | instid1(SALU_CYCLE_1)
	s_or_b32 exec_lo, exec_lo, s13
	s_sub_i32 s0, s18, s12
	s_cmp_lt_i32 s0, 1
	s_cbranch_scc1 .LBB4_126
; %bb.29:
	v_mov_b32_e32 v9, 0
	s_cmp_eq_u32 s16, 1
	v_ashrrev_i32_e32 v11, 31, v10
	s_cselect_b32 s1, -1, 0
	s_cmp_lg_u32 s16, 1
	v_lshlrev_b64 v[4:5], 2, v[8:9]
	s_mov_b32 s2, exec_lo
	s_delay_alu instid0(VALU_DEP_1) | instskip(NEXT) | instid1(VALU_DEP_1)
	v_add_co_u32 v9, s0, s20, v4
	v_add_co_ci_u32_e64 v17, s0, s21, v5, s0
	s_cselect_b32 s0, -1, 0
	v_cmpx_gt_i32_e64 s17, v10
	s_cbranch_execnz .LBB4_33
; %bb.30:
	s_or_b32 exec_lo, exec_lo, s2
	s_delay_alu instid0(SALU_CYCLE_1)
	s_mov_b32 s2, exec_lo
	v_cmpx_gt_i32_e64 s17, v16
	s_cbranch_execnz .LBB4_56
.LBB4_31:
	s_or_b32 exec_lo, exec_lo, s2
	s_delay_alu instid0(SALU_CYCLE_1)
	s_mov_b32 s2, exec_lo
	v_cmpx_gt_i32_e64 s17, v15
	s_cbranch_execnz .LBB4_79
.LBB4_32:
	s_or_b32 exec_lo, exec_lo, s2
	s_delay_alu instid0(SALU_CYCLE_1)
	s_mov_b32 s2, exec_lo
	v_cmpx_gt_i32_e64 s17, v14
	s_cbranch_execnz .LBB4_102
	s_branch .LBB4_125
.LBB4_33:
	v_mul_lo_u32 v6, v10, s23
	v_mul_lo_u32 v7, v11, s22
	v_mad_u64_u32 v[4:5], null, v10, s22, 0
	s_mov_b32 s3, exec_lo
	s_delay_alu instid0(VALU_DEP_1) | instskip(SKIP_1) | instid1(VALU_DEP_2)
	v_add3_u32 v5, v5, v6, v7
	v_lshlrev_b64 v[6:7], 2, v[10:11]
	v_lshlrev_b64 v[4:5], 2, v[4:5]
	s_delay_alu instid0(VALU_DEP_2) | instskip(NEXT) | instid1(VALU_DEP_3)
	v_add_co_u32 v18, vcc_lo, s20, v6
	v_add_co_ci_u32_e32 v19, vcc_lo, s21, v7, vcc_lo
	s_delay_alu instid0(VALU_DEP_3) | instskip(NEXT) | instid1(VALU_DEP_4)
	v_add_co_u32 v4, vcc_lo, v9, v4
	v_add_co_ci_u32_e32 v5, vcc_lo, v17, v5, vcc_lo
	v_cmpx_gt_i32_e64 s18, v8
	s_cbranch_execz .LBB4_37
; %bb.34:
	s_delay_alu instid0(VALU_DEP_2)
	v_dual_mov_b32 v7, v5 :: v_dual_mov_b32 v6, v4
	s_and_not1_b32 vcc_lo, exec_lo, s1
	s_cbranch_vccnz .LBB4_36
; %bb.35:
	v_mad_u64_u32 v[6:7], null, v8, s22, 0
	s_delay_alu instid0(VALU_DEP_1) | instskip(NEXT) | instid1(VALU_DEP_1)
	v_mad_u64_u32 v[20:21], null, v8, s23, v[7:8]
	v_mov_b32_e32 v7, v20
	s_delay_alu instid0(VALU_DEP_1) | instskip(NEXT) | instid1(VALU_DEP_1)
	v_lshlrev_b64 v[6:7], 2, v[6:7]
	v_add_co_u32 v6, vcc_lo, v18, v6
	s_delay_alu instid0(VALU_DEP_2)
	v_add_co_ci_u32_e32 v7, vcc_lo, v19, v7, vcc_lo
.LBB4_36:
	global_load_b32 v6, v[6:7], off
	s_waitcnt vmcnt(0)
	v_cmp_neq_f32_e32 vcc_lo, 0, v6
	v_add_co_ci_u32_e32 v0, vcc_lo, 0, v0, vcc_lo
.LBB4_37:
	s_or_b32 exec_lo, exec_lo, s3
	v_or_b32_e32 v20, 1, v8
	s_mov_b32 s3, exec_lo
	s_delay_alu instid0(VALU_DEP_1)
	v_cmpx_gt_i32_e64 s18, v20
	s_cbranch_execz .LBB4_43
; %bb.38:
	s_and_not1_b32 vcc_lo, exec_lo, s0
	s_cbranch_vccnz .LBB4_40
; %bb.39:
	v_add_co_u32 v6, vcc_lo, v4, 4
	v_add_co_ci_u32_e32 v7, vcc_lo, 0, v5, vcc_lo
	s_cbranch_execz .LBB4_41
	s_branch .LBB4_42
.LBB4_40:
                                        ; implicit-def: $vgpr6_vgpr7
.LBB4_41:
	v_mad_u64_u32 v[6:7], null, v20, s22, 0
	s_delay_alu instid0(VALU_DEP_1) | instskip(NEXT) | instid1(VALU_DEP_1)
	v_mad_u64_u32 v[21:22], null, v20, s23, v[7:8]
	v_mov_b32_e32 v7, v21
	s_delay_alu instid0(VALU_DEP_1) | instskip(NEXT) | instid1(VALU_DEP_1)
	v_lshlrev_b64 v[6:7], 2, v[6:7]
	v_add_co_u32 v6, vcc_lo, v18, v6
	s_delay_alu instid0(VALU_DEP_2)
	v_add_co_ci_u32_e32 v7, vcc_lo, v19, v7, vcc_lo
.LBB4_42:
	global_load_b32 v6, v[6:7], off
	s_waitcnt vmcnt(0)
	v_cmp_neq_f32_e32 vcc_lo, 0, v6
	v_add_co_ci_u32_e32 v0, vcc_lo, 0, v0, vcc_lo
.LBB4_43:
	s_or_b32 exec_lo, exec_lo, s3
	v_or_b32_e32 v20, 2, v8
	s_mov_b32 s3, exec_lo
	s_delay_alu instid0(VALU_DEP_1)
	v_cmpx_gt_i32_e64 s18, v20
	s_cbranch_execz .LBB4_49
; %bb.44:
	s_and_not1_b32 vcc_lo, exec_lo, s0
	s_cbranch_vccnz .LBB4_46
; %bb.45:
	v_add_co_u32 v6, vcc_lo, v4, 8
	v_add_co_ci_u32_e32 v7, vcc_lo, 0, v5, vcc_lo
	s_cbranch_execz .LBB4_47
	s_branch .LBB4_48
.LBB4_46:
                                        ; implicit-def: $vgpr6_vgpr7
.LBB4_47:
	v_mad_u64_u32 v[6:7], null, v20, s22, 0
	s_delay_alu instid0(VALU_DEP_1) | instskip(NEXT) | instid1(VALU_DEP_1)
	v_mad_u64_u32 v[21:22], null, v20, s23, v[7:8]
	v_mov_b32_e32 v7, v21
	s_delay_alu instid0(VALU_DEP_1) | instskip(NEXT) | instid1(VALU_DEP_1)
	v_lshlrev_b64 v[6:7], 2, v[6:7]
	v_add_co_u32 v6, vcc_lo, v18, v6
	s_delay_alu instid0(VALU_DEP_2)
	v_add_co_ci_u32_e32 v7, vcc_lo, v19, v7, vcc_lo
.LBB4_48:
	global_load_b32 v6, v[6:7], off
	s_waitcnt vmcnt(0)
	v_cmp_neq_f32_e32 vcc_lo, 0, v6
	v_add_co_ci_u32_e32 v0, vcc_lo, 0, v0, vcc_lo
.LBB4_49:
	s_or_b32 exec_lo, exec_lo, s3
	v_or_b32_e32 v6, 3, v8
	s_mov_b32 s3, exec_lo
	s_delay_alu instid0(VALU_DEP_1)
	v_cmpx_gt_i32_e64 s18, v6
	s_cbranch_execz .LBB4_55
; %bb.50:
	s_and_not1_b32 vcc_lo, exec_lo, s0
	s_cbranch_vccnz .LBB4_52
; %bb.51:
	v_add_co_u32 v4, vcc_lo, v4, 12
	v_add_co_ci_u32_e32 v5, vcc_lo, 0, v5, vcc_lo
	s_cbranch_execz .LBB4_53
	s_branch .LBB4_54
.LBB4_52:
                                        ; implicit-def: $vgpr4_vgpr5
.LBB4_53:
	v_mad_u64_u32 v[4:5], null, v6, s22, 0
	s_delay_alu instid0(VALU_DEP_1) | instskip(NEXT) | instid1(VALU_DEP_1)
	v_mad_u64_u32 v[20:21], null, v6, s23, v[5:6]
	v_mov_b32_e32 v5, v20
	s_delay_alu instid0(VALU_DEP_1) | instskip(NEXT) | instid1(VALU_DEP_1)
	v_lshlrev_b64 v[4:5], 2, v[4:5]
	v_add_co_u32 v4, vcc_lo, v18, v4
	s_delay_alu instid0(VALU_DEP_2)
	v_add_co_ci_u32_e32 v5, vcc_lo, v19, v5, vcc_lo
.LBB4_54:
	global_load_b32 v4, v[4:5], off
	s_waitcnt vmcnt(0)
	v_cmp_neq_f32_e32 vcc_lo, 0, v4
	v_add_co_ci_u32_e32 v0, vcc_lo, 0, v0, vcc_lo
.LBB4_55:
	s_or_b32 exec_lo, exec_lo, s3
	s_delay_alu instid0(SALU_CYCLE_1) | instskip(NEXT) | instid1(SALU_CYCLE_1)
	s_or_b32 exec_lo, exec_lo, s2
	s_mov_b32 s2, exec_lo
	v_cmpx_gt_i32_e64 s17, v16
	s_cbranch_execz .LBB4_31
.LBB4_56:
	v_ashrrev_i32_e32 v6, 31, v16
	v_mul_lo_u32 v7, v16, s23
	v_mad_u64_u32 v[4:5], null, v16, s22, 0
	s_mov_b32 s3, exec_lo
	s_delay_alu instid0(VALU_DEP_3) | instskip(NEXT) | instid1(VALU_DEP_1)
	v_mul_lo_u32 v6, v6, s22
	v_add3_u32 v5, v5, v7, v6
	v_lshlrev_b64 v[6:7], 2, v[10:11]
	s_delay_alu instid0(VALU_DEP_2) | instskip(NEXT) | instid1(VALU_DEP_2)
	v_lshlrev_b64 v[4:5], 2, v[4:5]
	v_add_co_u32 v16, vcc_lo, s20, v6
	s_delay_alu instid0(VALU_DEP_3) | instskip(NEXT) | instid1(VALU_DEP_3)
	v_add_co_ci_u32_e32 v18, vcc_lo, s21, v7, vcc_lo
	v_add_co_u32 v4, vcc_lo, v9, v4
	s_delay_alu instid0(VALU_DEP_4)
	v_add_co_ci_u32_e32 v5, vcc_lo, v17, v5, vcc_lo
	v_cmpx_gt_i32_e64 s18, v8
	s_cbranch_execz .LBB4_60
; %bb.57:
	s_delay_alu instid0(VALU_DEP_2)
	v_dual_mov_b32 v7, v5 :: v_dual_mov_b32 v6, v4
	s_and_not1_b32 vcc_lo, exec_lo, s1
	s_cbranch_vccnz .LBB4_59
; %bb.58:
	v_mad_u64_u32 v[6:7], null, v8, s22, 0
	s_delay_alu instid0(VALU_DEP_1) | instskip(NEXT) | instid1(VALU_DEP_1)
	v_mad_u64_u32 v[19:20], null, v8, s23, v[7:8]
	v_mov_b32_e32 v7, v19
	s_delay_alu instid0(VALU_DEP_1) | instskip(NEXT) | instid1(VALU_DEP_1)
	v_lshlrev_b64 v[6:7], 2, v[6:7]
	v_add_co_u32 v6, vcc_lo, v16, v6
	s_delay_alu instid0(VALU_DEP_2) | instskip(NEXT) | instid1(VALU_DEP_2)
	v_add_co_ci_u32_e32 v7, vcc_lo, v18, v7, vcc_lo
	v_add_co_u32 v6, vcc_lo, 0x100, v6
	s_delay_alu instid0(VALU_DEP_2)
	v_add_co_ci_u32_e32 v7, vcc_lo, 0, v7, vcc_lo
.LBB4_59:
	global_load_b32 v6, v[6:7], off
	s_waitcnt vmcnt(0)
	v_cmp_neq_f32_e32 vcc_lo, 0, v6
	v_add_co_ci_u32_e32 v1, vcc_lo, 0, v1, vcc_lo
.LBB4_60:
	s_or_b32 exec_lo, exec_lo, s3
	v_or_b32_e32 v19, 1, v8
	s_mov_b32 s3, exec_lo
	s_delay_alu instid0(VALU_DEP_1)
	v_cmpx_gt_i32_e64 s18, v19
	s_cbranch_execz .LBB4_66
; %bb.61:
	s_and_not1_b32 vcc_lo, exec_lo, s0
	s_cbranch_vccnz .LBB4_63
; %bb.62:
	v_add_co_u32 v6, vcc_lo, v4, 4
	v_add_co_ci_u32_e32 v7, vcc_lo, 0, v5, vcc_lo
	s_cbranch_execz .LBB4_64
	s_branch .LBB4_65
.LBB4_63:
                                        ; implicit-def: $vgpr6_vgpr7
.LBB4_64:
	v_mad_u64_u32 v[6:7], null, v19, s22, 0
	s_delay_alu instid0(VALU_DEP_1) | instskip(NEXT) | instid1(VALU_DEP_1)
	v_mad_u64_u32 v[20:21], null, v19, s23, v[7:8]
	v_mov_b32_e32 v7, v20
	s_delay_alu instid0(VALU_DEP_1) | instskip(NEXT) | instid1(VALU_DEP_1)
	v_lshlrev_b64 v[6:7], 2, v[6:7]
	v_add_co_u32 v6, vcc_lo, v16, v6
	s_delay_alu instid0(VALU_DEP_2) | instskip(NEXT) | instid1(VALU_DEP_2)
	v_add_co_ci_u32_e32 v7, vcc_lo, v18, v7, vcc_lo
	v_add_co_u32 v6, vcc_lo, 0x100, v6
	s_delay_alu instid0(VALU_DEP_2)
	v_add_co_ci_u32_e32 v7, vcc_lo, 0, v7, vcc_lo
.LBB4_65:
	global_load_b32 v6, v[6:7], off
	s_waitcnt vmcnt(0)
	v_cmp_neq_f32_e32 vcc_lo, 0, v6
	v_add_co_ci_u32_e32 v1, vcc_lo, 0, v1, vcc_lo
.LBB4_66:
	s_or_b32 exec_lo, exec_lo, s3
	v_or_b32_e32 v19, 2, v8
	s_mov_b32 s3, exec_lo
	s_delay_alu instid0(VALU_DEP_1)
	v_cmpx_gt_i32_e64 s18, v19
	s_cbranch_execz .LBB4_72
; %bb.67:
	s_and_not1_b32 vcc_lo, exec_lo, s0
	s_cbranch_vccnz .LBB4_69
; %bb.68:
	v_add_co_u32 v6, vcc_lo, v4, 8
	v_add_co_ci_u32_e32 v7, vcc_lo, 0, v5, vcc_lo
	s_cbranch_execz .LBB4_70
	s_branch .LBB4_71
.LBB4_69:
                                        ; implicit-def: $vgpr6_vgpr7
.LBB4_70:
	v_mad_u64_u32 v[6:7], null, v19, s22, 0
	s_delay_alu instid0(VALU_DEP_1) | instskip(NEXT) | instid1(VALU_DEP_1)
	v_mad_u64_u32 v[20:21], null, v19, s23, v[7:8]
	v_mov_b32_e32 v7, v20
	s_delay_alu instid0(VALU_DEP_1) | instskip(NEXT) | instid1(VALU_DEP_1)
	v_lshlrev_b64 v[6:7], 2, v[6:7]
	v_add_co_u32 v6, vcc_lo, v16, v6
	s_delay_alu instid0(VALU_DEP_2) | instskip(NEXT) | instid1(VALU_DEP_2)
	v_add_co_ci_u32_e32 v7, vcc_lo, v18, v7, vcc_lo
	v_add_co_u32 v6, vcc_lo, 0x100, v6
	s_delay_alu instid0(VALU_DEP_2)
	v_add_co_ci_u32_e32 v7, vcc_lo, 0, v7, vcc_lo
.LBB4_71:
	global_load_b32 v6, v[6:7], off
	s_waitcnt vmcnt(0)
	v_cmp_neq_f32_e32 vcc_lo, 0, v6
	v_add_co_ci_u32_e32 v1, vcc_lo, 0, v1, vcc_lo
.LBB4_72:
	s_or_b32 exec_lo, exec_lo, s3
	v_or_b32_e32 v6, 3, v8
	s_mov_b32 s3, exec_lo
	s_delay_alu instid0(VALU_DEP_1)
	v_cmpx_gt_i32_e64 s18, v6
	s_cbranch_execz .LBB4_78
; %bb.73:
	s_and_not1_b32 vcc_lo, exec_lo, s0
	s_cbranch_vccnz .LBB4_75
; %bb.74:
	v_add_co_u32 v4, vcc_lo, v4, 12
	v_add_co_ci_u32_e32 v5, vcc_lo, 0, v5, vcc_lo
	s_cbranch_execz .LBB4_76
	s_branch .LBB4_77
.LBB4_75:
                                        ; implicit-def: $vgpr4_vgpr5
.LBB4_76:
	v_mad_u64_u32 v[4:5], null, v6, s22, 0
	s_delay_alu instid0(VALU_DEP_1) | instskip(NEXT) | instid1(VALU_DEP_1)
	v_mad_u64_u32 v[19:20], null, v6, s23, v[5:6]
	v_mov_b32_e32 v5, v19
	s_delay_alu instid0(VALU_DEP_1) | instskip(NEXT) | instid1(VALU_DEP_1)
	v_lshlrev_b64 v[4:5], 2, v[4:5]
	v_add_co_u32 v4, vcc_lo, v16, v4
	s_delay_alu instid0(VALU_DEP_2) | instskip(NEXT) | instid1(VALU_DEP_2)
	v_add_co_ci_u32_e32 v5, vcc_lo, v18, v5, vcc_lo
	v_add_co_u32 v4, vcc_lo, 0x100, v4
	s_delay_alu instid0(VALU_DEP_2)
	v_add_co_ci_u32_e32 v5, vcc_lo, 0, v5, vcc_lo
.LBB4_77:
	global_load_b32 v4, v[4:5], off
	s_waitcnt vmcnt(0)
	v_cmp_neq_f32_e32 vcc_lo, 0, v4
	v_add_co_ci_u32_e32 v1, vcc_lo, 0, v1, vcc_lo
.LBB4_78:
	s_or_b32 exec_lo, exec_lo, s3
	s_delay_alu instid0(SALU_CYCLE_1) | instskip(NEXT) | instid1(SALU_CYCLE_1)
	s_or_b32 exec_lo, exec_lo, s2
	s_mov_b32 s2, exec_lo
	v_cmpx_gt_i32_e64 s17, v15
	s_cbranch_execz .LBB4_32
.LBB4_79:
	v_ashrrev_i32_e32 v6, 31, v15
	v_mul_lo_u32 v7, v15, s23
	v_mad_u64_u32 v[4:5], null, v15, s22, 0
	s_mov_b32 s3, exec_lo
	s_delay_alu instid0(VALU_DEP_3) | instskip(NEXT) | instid1(VALU_DEP_1)
	v_mul_lo_u32 v6, v6, s22
	v_add3_u32 v5, v5, v7, v6
	v_lshlrev_b64 v[6:7], 2, v[10:11]
	s_delay_alu instid0(VALU_DEP_2) | instskip(NEXT) | instid1(VALU_DEP_2)
	v_lshlrev_b64 v[4:5], 2, v[4:5]
	v_add_co_u32 v15, vcc_lo, s20, v6
	s_delay_alu instid0(VALU_DEP_3) | instskip(NEXT) | instid1(VALU_DEP_3)
	v_add_co_ci_u32_e32 v16, vcc_lo, s21, v7, vcc_lo
	v_add_co_u32 v4, vcc_lo, v9, v4
	s_delay_alu instid0(VALU_DEP_4)
	v_add_co_ci_u32_e32 v5, vcc_lo, v17, v5, vcc_lo
	v_cmpx_gt_i32_e64 s18, v8
	s_cbranch_execz .LBB4_83
; %bb.80:
	s_delay_alu instid0(VALU_DEP_2)
	v_dual_mov_b32 v7, v5 :: v_dual_mov_b32 v6, v4
	s_and_not1_b32 vcc_lo, exec_lo, s1
	s_cbranch_vccnz .LBB4_82
; %bb.81:
	v_mad_u64_u32 v[6:7], null, v8, s22, 0
	s_delay_alu instid0(VALU_DEP_1) | instskip(NEXT) | instid1(VALU_DEP_1)
	v_mad_u64_u32 v[18:19], null, v8, s23, v[7:8]
	v_mov_b32_e32 v7, v18
	s_delay_alu instid0(VALU_DEP_1) | instskip(NEXT) | instid1(VALU_DEP_1)
	v_lshlrev_b64 v[6:7], 2, v[6:7]
	v_add_co_u32 v6, vcc_lo, v15, v6
	s_delay_alu instid0(VALU_DEP_2) | instskip(NEXT) | instid1(VALU_DEP_2)
	v_add_co_ci_u32_e32 v7, vcc_lo, v16, v7, vcc_lo
	v_add_co_u32 v6, vcc_lo, 0x200, v6
	s_delay_alu instid0(VALU_DEP_2)
	v_add_co_ci_u32_e32 v7, vcc_lo, 0, v7, vcc_lo
.LBB4_82:
	global_load_b32 v6, v[6:7], off
	s_waitcnt vmcnt(0)
	v_cmp_neq_f32_e32 vcc_lo, 0, v6
	v_add_co_ci_u32_e32 v2, vcc_lo, 0, v2, vcc_lo
.LBB4_83:
	s_or_b32 exec_lo, exec_lo, s3
	v_or_b32_e32 v18, 1, v8
	s_mov_b32 s3, exec_lo
	s_delay_alu instid0(VALU_DEP_1)
	v_cmpx_gt_i32_e64 s18, v18
	s_cbranch_execz .LBB4_89
; %bb.84:
	s_and_not1_b32 vcc_lo, exec_lo, s0
	s_cbranch_vccnz .LBB4_86
; %bb.85:
	v_add_co_u32 v6, vcc_lo, v4, 4
	v_add_co_ci_u32_e32 v7, vcc_lo, 0, v5, vcc_lo
	s_cbranch_execz .LBB4_87
	s_branch .LBB4_88
.LBB4_86:
                                        ; implicit-def: $vgpr6_vgpr7
.LBB4_87:
	v_mad_u64_u32 v[6:7], null, v18, s22, 0
	s_delay_alu instid0(VALU_DEP_1) | instskip(NEXT) | instid1(VALU_DEP_1)
	v_mad_u64_u32 v[19:20], null, v18, s23, v[7:8]
	v_mov_b32_e32 v7, v19
	s_delay_alu instid0(VALU_DEP_1) | instskip(NEXT) | instid1(VALU_DEP_1)
	v_lshlrev_b64 v[6:7], 2, v[6:7]
	v_add_co_u32 v6, vcc_lo, v15, v6
	s_delay_alu instid0(VALU_DEP_2) | instskip(NEXT) | instid1(VALU_DEP_2)
	v_add_co_ci_u32_e32 v7, vcc_lo, v16, v7, vcc_lo
	v_add_co_u32 v6, vcc_lo, 0x200, v6
	s_delay_alu instid0(VALU_DEP_2)
	v_add_co_ci_u32_e32 v7, vcc_lo, 0, v7, vcc_lo
.LBB4_88:
	global_load_b32 v6, v[6:7], off
	s_waitcnt vmcnt(0)
	v_cmp_neq_f32_e32 vcc_lo, 0, v6
	v_add_co_ci_u32_e32 v2, vcc_lo, 0, v2, vcc_lo
.LBB4_89:
	s_or_b32 exec_lo, exec_lo, s3
	v_or_b32_e32 v18, 2, v8
	s_mov_b32 s3, exec_lo
	s_delay_alu instid0(VALU_DEP_1)
	v_cmpx_gt_i32_e64 s18, v18
	s_cbranch_execz .LBB4_95
; %bb.90:
	s_and_not1_b32 vcc_lo, exec_lo, s0
	s_cbranch_vccnz .LBB4_92
; %bb.91:
	v_add_co_u32 v6, vcc_lo, v4, 8
	v_add_co_ci_u32_e32 v7, vcc_lo, 0, v5, vcc_lo
	s_cbranch_execz .LBB4_93
	s_branch .LBB4_94
.LBB4_92:
                                        ; implicit-def: $vgpr6_vgpr7
.LBB4_93:
	v_mad_u64_u32 v[6:7], null, v18, s22, 0
	s_delay_alu instid0(VALU_DEP_1) | instskip(NEXT) | instid1(VALU_DEP_1)
	v_mad_u64_u32 v[19:20], null, v18, s23, v[7:8]
	v_mov_b32_e32 v7, v19
	s_delay_alu instid0(VALU_DEP_1) | instskip(NEXT) | instid1(VALU_DEP_1)
	v_lshlrev_b64 v[6:7], 2, v[6:7]
	v_add_co_u32 v6, vcc_lo, v15, v6
	s_delay_alu instid0(VALU_DEP_2) | instskip(NEXT) | instid1(VALU_DEP_2)
	v_add_co_ci_u32_e32 v7, vcc_lo, v16, v7, vcc_lo
	v_add_co_u32 v6, vcc_lo, 0x200, v6
	s_delay_alu instid0(VALU_DEP_2)
	v_add_co_ci_u32_e32 v7, vcc_lo, 0, v7, vcc_lo
.LBB4_94:
	global_load_b32 v6, v[6:7], off
	s_waitcnt vmcnt(0)
	v_cmp_neq_f32_e32 vcc_lo, 0, v6
	v_add_co_ci_u32_e32 v2, vcc_lo, 0, v2, vcc_lo
.LBB4_95:
	s_or_b32 exec_lo, exec_lo, s3
	v_or_b32_e32 v6, 3, v8
	s_mov_b32 s3, exec_lo
	s_delay_alu instid0(VALU_DEP_1)
	v_cmpx_gt_i32_e64 s18, v6
	s_cbranch_execz .LBB4_101
; %bb.96:
	s_and_not1_b32 vcc_lo, exec_lo, s0
	s_cbranch_vccnz .LBB4_98
; %bb.97:
	v_add_co_u32 v4, vcc_lo, v4, 12
	v_add_co_ci_u32_e32 v5, vcc_lo, 0, v5, vcc_lo
	s_cbranch_execz .LBB4_99
	s_branch .LBB4_100
.LBB4_98:
                                        ; implicit-def: $vgpr4_vgpr5
.LBB4_99:
	v_mad_u64_u32 v[4:5], null, v6, s22, 0
	s_delay_alu instid0(VALU_DEP_1) | instskip(NEXT) | instid1(VALU_DEP_1)
	v_mad_u64_u32 v[18:19], null, v6, s23, v[5:6]
	v_mov_b32_e32 v5, v18
	s_delay_alu instid0(VALU_DEP_1) | instskip(NEXT) | instid1(VALU_DEP_1)
	v_lshlrev_b64 v[4:5], 2, v[4:5]
	v_add_co_u32 v4, vcc_lo, v15, v4
	s_delay_alu instid0(VALU_DEP_2) | instskip(NEXT) | instid1(VALU_DEP_2)
	v_add_co_ci_u32_e32 v5, vcc_lo, v16, v5, vcc_lo
	v_add_co_u32 v4, vcc_lo, 0x200, v4
	s_delay_alu instid0(VALU_DEP_2)
	v_add_co_ci_u32_e32 v5, vcc_lo, 0, v5, vcc_lo
.LBB4_100:
	global_load_b32 v4, v[4:5], off
	s_waitcnt vmcnt(0)
	v_cmp_neq_f32_e32 vcc_lo, 0, v4
	v_add_co_ci_u32_e32 v2, vcc_lo, 0, v2, vcc_lo
.LBB4_101:
	s_or_b32 exec_lo, exec_lo, s3
	s_delay_alu instid0(SALU_CYCLE_1) | instskip(NEXT) | instid1(SALU_CYCLE_1)
	s_or_b32 exec_lo, exec_lo, s2
	s_mov_b32 s2, exec_lo
	v_cmpx_gt_i32_e64 s17, v14
	s_cbranch_execz .LBB4_125
.LBB4_102:
	v_ashrrev_i32_e32 v6, 31, v14
	v_mul_lo_u32 v7, v14, s23
	v_mad_u64_u32 v[4:5], null, v14, s22, 0
	s_mov_b32 s3, exec_lo
	s_delay_alu instid0(VALU_DEP_3) | instskip(NEXT) | instid1(VALU_DEP_1)
	v_mul_lo_u32 v6, v6, s22
	v_add3_u32 v5, v5, v7, v6
	v_lshlrev_b64 v[6:7], 2, v[10:11]
	s_delay_alu instid0(VALU_DEP_2) | instskip(NEXT) | instid1(VALU_DEP_2)
	v_lshlrev_b64 v[4:5], 2, v[4:5]
	v_add_co_u32 v10, vcc_lo, s20, v6
	s_delay_alu instid0(VALU_DEP_3) | instskip(NEXT) | instid1(VALU_DEP_3)
	v_add_co_ci_u32_e32 v11, vcc_lo, s21, v7, vcc_lo
	v_add_co_u32 v4, vcc_lo, v9, v4
	s_delay_alu instid0(VALU_DEP_4)
	v_add_co_ci_u32_e32 v5, vcc_lo, v17, v5, vcc_lo
	v_cmpx_gt_i32_e64 s18, v8
	s_cbranch_execz .LBB4_106
; %bb.103:
	s_delay_alu instid0(VALU_DEP_2)
	v_dual_mov_b32 v7, v5 :: v_dual_mov_b32 v6, v4
	s_and_not1_b32 vcc_lo, exec_lo, s1
	s_cbranch_vccnz .LBB4_105
; %bb.104:
	v_mad_u64_u32 v[6:7], null, v8, s22, 0
	s_delay_alu instid0(VALU_DEP_1) | instskip(NEXT) | instid1(VALU_DEP_1)
	v_mad_u64_u32 v[14:15], null, v8, s23, v[7:8]
	v_mov_b32_e32 v7, v14
	s_delay_alu instid0(VALU_DEP_1) | instskip(NEXT) | instid1(VALU_DEP_1)
	v_lshlrev_b64 v[6:7], 2, v[6:7]
	v_add_co_u32 v6, vcc_lo, v10, v6
	s_delay_alu instid0(VALU_DEP_2) | instskip(NEXT) | instid1(VALU_DEP_2)
	v_add_co_ci_u32_e32 v7, vcc_lo, v11, v7, vcc_lo
	v_add_co_u32 v6, vcc_lo, 0x300, v6
	s_delay_alu instid0(VALU_DEP_2)
	v_add_co_ci_u32_e32 v7, vcc_lo, 0, v7, vcc_lo
.LBB4_105:
	global_load_b32 v6, v[6:7], off
	s_waitcnt vmcnt(0)
	v_cmp_neq_f32_e32 vcc_lo, 0, v6
	v_add_co_ci_u32_e32 v3, vcc_lo, 0, v3, vcc_lo
.LBB4_106:
	s_or_b32 exec_lo, exec_lo, s3
	v_or_b32_e32 v14, 1, v8
	v_cndmask_b32_e64 v9, 0, 1, s0
	s_mov_b32 s1, exec_lo
	s_delay_alu instid0(VALU_DEP_2)
	v_cmpx_gt_i32_e64 s18, v14
	s_cbranch_execz .LBB4_112
; %bb.107:
	s_and_not1_b32 vcc_lo, exec_lo, s0
	s_cbranch_vccnz .LBB4_109
; %bb.108:
	v_add_co_u32 v6, vcc_lo, v4, 4
	v_add_co_ci_u32_e32 v7, vcc_lo, 0, v5, vcc_lo
	s_cbranch_execz .LBB4_110
	s_branch .LBB4_111
.LBB4_109:
                                        ; implicit-def: $vgpr6_vgpr7
.LBB4_110:
	v_mad_u64_u32 v[6:7], null, v14, s22, 0
	s_delay_alu instid0(VALU_DEP_1) | instskip(NEXT) | instid1(VALU_DEP_1)
	v_mad_u64_u32 v[15:16], null, v14, s23, v[7:8]
	v_mov_b32_e32 v7, v15
	s_delay_alu instid0(VALU_DEP_1) | instskip(NEXT) | instid1(VALU_DEP_1)
	v_lshlrev_b64 v[6:7], 2, v[6:7]
	v_add_co_u32 v6, vcc_lo, v10, v6
	s_delay_alu instid0(VALU_DEP_2) | instskip(NEXT) | instid1(VALU_DEP_2)
	v_add_co_ci_u32_e32 v7, vcc_lo, v11, v7, vcc_lo
	v_add_co_u32 v6, vcc_lo, 0x300, v6
	s_delay_alu instid0(VALU_DEP_2)
	v_add_co_ci_u32_e32 v7, vcc_lo, 0, v7, vcc_lo
.LBB4_111:
	global_load_b32 v6, v[6:7], off
	s_waitcnt vmcnt(0)
	v_cmp_neq_f32_e32 vcc_lo, 0, v6
	v_add_co_ci_u32_e32 v3, vcc_lo, 0, v3, vcc_lo
.LBB4_112:
	s_or_b32 exec_lo, exec_lo, s1
	v_or_b32_e32 v14, 2, v8
	s_mov_b32 s0, exec_lo
	s_delay_alu instid0(VALU_DEP_1)
	v_cmpx_gt_i32_e64 s18, v14
	s_cbranch_execz .LBB4_118
; %bb.113:
	v_cmp_ne_u32_e32 vcc_lo, 1, v9
	s_cbranch_vccnz .LBB4_115
; %bb.114:
	v_add_co_u32 v6, vcc_lo, v4, 8
	v_add_co_ci_u32_e32 v7, vcc_lo, 0, v5, vcc_lo
	s_cbranch_execz .LBB4_116
	s_branch .LBB4_117
.LBB4_115:
                                        ; implicit-def: $vgpr6_vgpr7
.LBB4_116:
	v_mad_u64_u32 v[6:7], null, v14, s22, 0
	s_delay_alu instid0(VALU_DEP_1) | instskip(NEXT) | instid1(VALU_DEP_1)
	v_mad_u64_u32 v[15:16], null, v14, s23, v[7:8]
	v_mov_b32_e32 v7, v15
	s_delay_alu instid0(VALU_DEP_1) | instskip(NEXT) | instid1(VALU_DEP_1)
	v_lshlrev_b64 v[6:7], 2, v[6:7]
	v_add_co_u32 v6, vcc_lo, v10, v6
	s_delay_alu instid0(VALU_DEP_2) | instskip(NEXT) | instid1(VALU_DEP_2)
	v_add_co_ci_u32_e32 v7, vcc_lo, v11, v7, vcc_lo
	v_add_co_u32 v6, vcc_lo, 0x300, v6
	s_delay_alu instid0(VALU_DEP_2)
	v_add_co_ci_u32_e32 v7, vcc_lo, 0, v7, vcc_lo
.LBB4_117:
	global_load_b32 v6, v[6:7], off
	s_waitcnt vmcnt(0)
	v_cmp_neq_f32_e32 vcc_lo, 0, v6
	v_add_co_ci_u32_e32 v3, vcc_lo, 0, v3, vcc_lo
.LBB4_118:
	s_or_b32 exec_lo, exec_lo, s0
	v_or_b32_e32 v6, 3, v8
	s_mov_b32 s0, exec_lo
	s_delay_alu instid0(VALU_DEP_1)
	v_cmpx_gt_i32_e64 s18, v6
	s_cbranch_execz .LBB4_124
; %bb.119:
	v_cmp_ne_u32_e32 vcc_lo, 1, v9
	s_cbranch_vccnz .LBB4_121
; %bb.120:
	v_add_co_u32 v4, vcc_lo, v4, 12
	v_add_co_ci_u32_e32 v5, vcc_lo, 0, v5, vcc_lo
	s_cbranch_execz .LBB4_122
	s_branch .LBB4_123
.LBB4_121:
                                        ; implicit-def: $vgpr4_vgpr5
.LBB4_122:
	v_mad_u64_u32 v[4:5], null, v6, s22, 0
	s_delay_alu instid0(VALU_DEP_1) | instskip(NEXT) | instid1(VALU_DEP_1)
	v_mad_u64_u32 v[7:8], null, v6, s23, v[5:6]
	v_mov_b32_e32 v5, v7
	s_delay_alu instid0(VALU_DEP_1) | instskip(NEXT) | instid1(VALU_DEP_1)
	v_lshlrev_b64 v[4:5], 2, v[4:5]
	v_add_co_u32 v4, vcc_lo, v10, v4
	s_delay_alu instid0(VALU_DEP_2) | instskip(NEXT) | instid1(VALU_DEP_2)
	v_add_co_ci_u32_e32 v5, vcc_lo, v11, v5, vcc_lo
	v_add_co_u32 v4, vcc_lo, 0x300, v4
	s_delay_alu instid0(VALU_DEP_2)
	v_add_co_ci_u32_e32 v5, vcc_lo, 0, v5, vcc_lo
.LBB4_123:
	global_load_b32 v4, v[4:5], off
	s_waitcnt vmcnt(0)
	v_cmp_neq_f32_e32 vcc_lo, 0, v4
	v_add_co_ci_u32_e32 v3, vcc_lo, 0, v3, vcc_lo
.LBB4_124:
	s_or_b32 exec_lo, exec_lo, s0
.LBB4_125:
	s_delay_alu instid0(SALU_CYCLE_1)
	s_or_b32 exec_lo, exec_lo, s2
.LBB4_126:
	v_lshlrev_b32_e32 v4, 2, v12
	s_mov_b32 s0, exec_lo
	s_delay_alu instid0(VALU_DEP_1) | instskip(NEXT) | instid1(VALU_DEP_1)
	v_and_or_b32 v5, 0x1fffff00, v4, v13
	v_lshlrev_b32_e32 v5, 2, v5
	ds_store_2addr_stride64_b32 v5, v0, v1 offset1:1
	ds_store_2addr_stride64_b32 v5, v2, v3 offset0:2 offset1:3
	s_waitcnt lgkmcnt(0)
	s_barrier
	buffer_gl0_inv
	v_cmpx_gt_u32_e32 0x100, v12
	s_cbranch_execz .LBB4_129
; %bb.127:
	ds_load_2addr_stride64_b32 v[0:1], v4 offset1:4
	ds_load_2addr_stride64_b32 v[2:3], v4 offset0:8 offset1:12
	ds_load_2addr_stride64_b32 v[5:6], v4 offset0:16 offset1:20
	;; [unrolled: 1-line block ×3, first 2 shown]
	s_waitcnt lgkmcnt(3)
	v_add_nc_u32_e32 v9, v0, v1
	ds_load_2addr_stride64_b32 v[0:1], v4 offset0:32 offset1:36
	s_waitcnt lgkmcnt(3)
	v_add3_u32 v9, v9, v2, v3
	ds_load_2addr_stride64_b32 v[2:3], v4 offset0:40 offset1:44
	s_waitcnt lgkmcnt(3)
	v_add3_u32 v9, v9, v5, v6
	;; [unrolled: 3-line block ×4, first 2 shown]
	s_waitcnt lgkmcnt(2)
	s_delay_alu instid0(VALU_DEP_1) | instskip(SKIP_1) | instid1(VALU_DEP_1)
	v_add3_u32 v0, v0, v2, v3
	s_waitcnt lgkmcnt(1)
	v_add3_u32 v1, v0, v5, v6
	v_add_nc_u32_e32 v0, s5, v12
	s_waitcnt lgkmcnt(0)
	s_delay_alu instid0(VALU_DEP_2) | instskip(NEXT) | instid1(VALU_DEP_2)
	v_add3_u32 v2, v1, v7, v8
	v_cmp_gt_i32_e32 vcc_lo, s17, v0
	ds_store_b32 v4, v2
	s_and_b32 exec_lo, exec_lo, vcc_lo
	s_cbranch_execz .LBB4_129
; %bb.128:
	v_ashrrev_i32_e32 v1, 31, v0
	s_delay_alu instid0(VALU_DEP_1) | instskip(NEXT) | instid1(VALU_DEP_1)
	v_lshlrev_b64 v[0:1], 2, v[0:1]
	v_add_co_u32 v0, vcc_lo, s6, v0
	s_delay_alu instid0(VALU_DEP_2)
	v_add_co_ci_u32_e32 v1, vcc_lo, s7, v1, vcc_lo
	global_store_b32 v[0:1], v2, off
.LBB4_129:
	s_nop 0
	s_sendmsg sendmsg(MSG_DEALLOC_VGPRS)
	s_endpgm
	.section	.rodata,"a",@progbits
	.p2align	6, 0x0
	.amdhsa_kernel _ZN9rocsparseL14nnz_kernel_rowILi64ELi16EiifEEv16rocsparse_order_T2_S2_PKT3_lPT1_
		.amdhsa_group_segment_fixed_size 16384
		.amdhsa_private_segment_fixed_size 0
		.amdhsa_kernarg_size 296
		.amdhsa_user_sgpr_count 15
		.amdhsa_user_sgpr_dispatch_ptr 0
		.amdhsa_user_sgpr_queue_ptr 0
		.amdhsa_user_sgpr_kernarg_segment_ptr 1
		.amdhsa_user_sgpr_dispatch_id 0
		.amdhsa_user_sgpr_private_segment_size 0
		.amdhsa_wavefront_size32 1
		.amdhsa_uses_dynamic_stack 0
		.amdhsa_enable_private_segment 0
		.amdhsa_system_sgpr_workgroup_id_x 1
		.amdhsa_system_sgpr_workgroup_id_y 0
		.amdhsa_system_sgpr_workgroup_id_z 0
		.amdhsa_system_sgpr_workgroup_info 0
		.amdhsa_system_vgpr_workitem_id 1
		.amdhsa_next_free_vgpr 33
		.amdhsa_next_free_sgpr 24
		.amdhsa_reserve_vcc 1
		.amdhsa_float_round_mode_32 0
		.amdhsa_float_round_mode_16_64 0
		.amdhsa_float_denorm_mode_32 3
		.amdhsa_float_denorm_mode_16_64 3
		.amdhsa_dx10_clamp 1
		.amdhsa_ieee_mode 1
		.amdhsa_fp16_overflow 0
		.amdhsa_workgroup_processor_mode 1
		.amdhsa_memory_ordered 1
		.amdhsa_forward_progress 0
		.amdhsa_shared_vgpr_count 0
		.amdhsa_exception_fp_ieee_invalid_op 0
		.amdhsa_exception_fp_denorm_src 0
		.amdhsa_exception_fp_ieee_div_zero 0
		.amdhsa_exception_fp_ieee_overflow 0
		.amdhsa_exception_fp_ieee_underflow 0
		.amdhsa_exception_fp_ieee_inexact 0
		.amdhsa_exception_int_div_zero 0
	.end_amdhsa_kernel
	.section	.text._ZN9rocsparseL14nnz_kernel_rowILi64ELi16EiifEEv16rocsparse_order_T2_S2_PKT3_lPT1_,"axG",@progbits,_ZN9rocsparseL14nnz_kernel_rowILi64ELi16EiifEEv16rocsparse_order_T2_S2_PKT3_lPT1_,comdat
.Lfunc_end4:
	.size	_ZN9rocsparseL14nnz_kernel_rowILi64ELi16EiifEEv16rocsparse_order_T2_S2_PKT3_lPT1_, .Lfunc_end4-_ZN9rocsparseL14nnz_kernel_rowILi64ELi16EiifEEv16rocsparse_order_T2_S2_PKT3_lPT1_
                                        ; -- End function
	.section	.AMDGPU.csdata,"",@progbits
; Kernel info:
; codeLenInByte = 5344
; NumSgprs: 26
; NumVgprs: 33
; ScratchSize: 0
; MemoryBound: 0
; FloatMode: 240
; IeeeMode: 1
; LDSByteSize: 16384 bytes/workgroup (compile time only)
; SGPRBlocks: 3
; VGPRBlocks: 4
; NumSGPRsForWavesPerEU: 26
; NumVGPRsForWavesPerEU: 33
; Occupancy: 16
; WaveLimiterHint : 0
; COMPUTE_PGM_RSRC2:SCRATCH_EN: 0
; COMPUTE_PGM_RSRC2:USER_SGPR: 15
; COMPUTE_PGM_RSRC2:TRAP_HANDLER: 0
; COMPUTE_PGM_RSRC2:TGID_X_EN: 1
; COMPUTE_PGM_RSRC2:TGID_Y_EN: 0
; COMPUTE_PGM_RSRC2:TGID_Z_EN: 0
; COMPUTE_PGM_RSRC2:TIDIG_COMP_CNT: 1
	.section	.text._ZN9rocsparseL14nnz_kernel_colILi256EiifEEv16rocsparse_order_T1_S2_PKT2_lPT0_,"axG",@progbits,_ZN9rocsparseL14nnz_kernel_colILi256EiifEEv16rocsparse_order_T1_S2_PKT2_lPT0_,comdat
	.globl	_ZN9rocsparseL14nnz_kernel_colILi256EiifEEv16rocsparse_order_T1_S2_PKT2_lPT0_ ; -- Begin function _ZN9rocsparseL14nnz_kernel_colILi256EiifEEv16rocsparse_order_T1_S2_PKT2_lPT0_
	.p2align	8
	.type	_ZN9rocsparseL14nnz_kernel_colILi256EiifEEv16rocsparse_order_T1_S2_PKT2_lPT0_,@function
_ZN9rocsparseL14nnz_kernel_colILi256EiifEEv16rocsparse_order_T1_S2_PKT2_lPT0_: ; @_ZN9rocsparseL14nnz_kernel_colILi256EiifEEv16rocsparse_order_T1_S2_PKT2_lPT0_
; %bb.0:
	s_clause 0x1
	s_load_b64 s[8:9], s[0:1], 0x0
	s_load_b128 s[4:7], s[0:1], 0x10
	s_mov_b32 s2, s15
	s_waitcnt lgkmcnt(0)
	s_ashr_i32 s3, s9, 31
	s_delay_alu instid0(SALU_CYCLE_1) | instskip(NEXT) | instid1(SALU_CYCLE_1)
	s_lshr_b32 s3, s3, 24
	s_add_i32 s3, s9, s3
	s_delay_alu instid0(SALU_CYCLE_1)
	s_and_b32 s10, s3, 0xffffff00
	s_cmp_eq_u32 s8, 1
	s_cbranch_scc1 .LBB5_6
; %bb.1:
	v_mov_b32_e32 v5, 0
	s_cmpk_lt_i32 s9, 0x100
	s_cbranch_scc1 .LBB5_7
; %bb.2:
	v_mad_u64_u32 v[1:2], null, s6, v0, 0
	s_ashr_i32 s3, s2, 31
	v_mov_b32_e32 v5, 0
	s_lshl_b64 s[12:13], s[2:3], 2
	s_delay_alu instid0(SALU_CYCLE_1) | instskip(SKIP_1) | instid1(VALU_DEP_2)
	s_add_u32 s3, s4, s12
	s_addc_u32 s8, s5, s13
	v_mad_u64_u32 v[3:4], null, s7, v0, v[2:3]
	s_lshl_b64 s[12:13], s[6:7], 10
	s_delay_alu instid0(VALU_DEP_1) | instskip(NEXT) | instid1(VALU_DEP_1)
	v_mov_b32_e32 v2, v3
	v_lshlrev_b64 v[1:2], 2, v[1:2]
	s_delay_alu instid0(VALU_DEP_1) | instskip(NEXT) | instid1(VALU_DEP_2)
	v_add_co_u32 v1, vcc_lo, s3, v1
	v_add_co_ci_u32_e32 v2, vcc_lo, s8, v2, vcc_lo
	s_mov_b32 s3, 0
	s_branch .LBB5_4
	.p2align	6
.LBB5_3:                                ;   in Loop: Header=BB5_4 Depth=1
	s_or_b32 exec_lo, exec_lo, s8
	v_add_co_u32 v1, vcc_lo, v1, s12
	v_add_co_ci_u32_e32 v2, vcc_lo, s13, v2, vcc_lo
	s_addk_i32 s3, 0x100
	s_delay_alu instid0(SALU_CYCLE_1)
	s_cmp_ge_i32 s3, s10
	s_cbranch_scc1 .LBB5_7
.LBB5_4:                                ; =>This Inner Loop Header: Depth=1
	v_add_nc_u32_e32 v3, s3, v0
	s_mov_b32 s8, exec_lo
	s_delay_alu instid0(VALU_DEP_1)
	v_cmpx_gt_i32_e64 s9, v3
	s_cbranch_execz .LBB5_3
; %bb.5:                                ;   in Loop: Header=BB5_4 Depth=1
	global_load_b32 v3, v[1:2], off
	s_waitcnt vmcnt(0)
	v_cmp_neq_f32_e32 vcc_lo, 0, v3
	v_add_co_ci_u32_e32 v5, vcc_lo, 0, v5, vcc_lo
	s_branch .LBB5_3
.LBB5_6:
	s_mov_b32 s8, 0
                                        ; implicit-def: $vgpr5
                                        ; implicit-def: $vgpr1_vgpr2
	s_cbranch_execnz .LBB5_10
	s_branch .LBB5_16
.LBB5_7:
	v_add_nc_u32_e32 v3, s10, v0
	s_mov_b32 s11, 0
	s_mov_b32 s8, 0
                                        ; implicit-def: $vgpr1_vgpr2
	s_mov_b32 s3, exec_lo
	s_delay_alu instid0(VALU_DEP_1)
	v_cmpx_gt_i32_e64 s9, v3
	s_xor_b32 s12, exec_lo, s3
	s_cbranch_execz .LBB5_9
; %bb.8:
	v_ashrrev_i32_e32 v4, 31, v3
	v_mul_lo_u32 v6, v3, s7
	v_mad_u64_u32 v[1:2], null, v3, s6, 0
	s_ashr_i32 s3, s2, 31
	s_delay_alu instid0(VALU_DEP_3) | instskip(SKIP_4) | instid1(VALU_DEP_1)
	v_mul_lo_u32 v3, v4, s6
	s_lshl_b64 s[14:15], s[2:3], 2
	s_mov_b32 s8, exec_lo
	s_add_u32 s3, s14, s4
	s_addc_u32 s13, s15, s5
	v_add3_u32 v2, v2, v6, v3
	s_delay_alu instid0(VALU_DEP_1) | instskip(NEXT) | instid1(VALU_DEP_1)
	v_lshlrev_b64 v[1:2], 2, v[1:2]
	v_add_co_u32 v1, vcc_lo, s3, v1
	s_delay_alu instid0(VALU_DEP_2)
	v_add_co_ci_u32_e32 v2, vcc_lo, s13, v2, vcc_lo
.LBB5_9:
	s_or_b32 exec_lo, exec_lo, s12
	s_delay_alu instid0(SALU_CYCLE_1)
	s_and_b32 vcc_lo, exec_lo, s11
	s_cbranch_vccz .LBB5_16
.LBB5_10:
	v_cmp_gt_i32_e32 vcc_lo, s9, v0
	s_mul_i32 s3, s2, s7
	s_mul_hi_u32 s7, s2, s6
	s_ashr_i32 s11, s2, 31
	s_add_i32 s3, s7, s3
	v_cndmask_b32_e32 v1, 0, v0, vcc_lo
	s_mul_i32 s11, s11, s6
	s_mul_i32 s6, s2, s6
	s_add_i32 s7, s3, s11
	v_mov_b32_e32 v5, 0
	v_lshlrev_b32_e32 v1, 2, v1
	s_lshl_b64 s[6:7], s[6:7], 2
	s_delay_alu instid0(SALU_CYCLE_1) | instskip(SKIP_1) | instid1(VALU_DEP_1)
	s_add_u32 s3, s4, s6
	s_addc_u32 s4, s5, s7
	v_add_co_u32 v3, s3, s3, v1
	s_delay_alu instid0(VALU_DEP_1)
	v_add_co_ci_u32_e64 v4, null, s4, 0, s3
	s_cmpk_lt_i32 s9, 0x100
	s_mov_b32 s3, 0
	s_cbranch_scc1 .LBB5_13
; %bb.11:
	v_mov_b32_e32 v1, v3
	v_dual_mov_b32 v5, 0 :: v_dual_mov_b32 v2, v4
.LBB5_12:                               ; =>This Inner Loop Header: Depth=1
	global_load_b32 v6, v[1:2], off
	v_add_co_u32 v1, vcc_lo, 0x400, v1
	v_add_co_ci_u32_e32 v2, vcc_lo, 0, v2, vcc_lo
	s_addk_i32 s3, 0x100
	s_delay_alu instid0(SALU_CYCLE_1)
	s_cmp_ge_i32 s3, s10
	s_waitcnt vmcnt(0)
	v_cmp_neq_f32_e32 vcc_lo, 0, v6
	v_add_co_ci_u32_e32 v5, vcc_lo, 0, v5, vcc_lo
	s_cbranch_scc0 .LBB5_12
.LBB5_13:
	v_add_nc_u32_e32 v1, s10, v0
	s_delay_alu instid0(VALU_DEP_1)
	v_cmp_gt_i32_e32 vcc_lo, s9, v1
                                        ; implicit-def: $vgpr1_vgpr2
	s_and_saveexec_b32 s3, vcc_lo
; %bb.14:
	s_ashr_i32 s11, s10, 31
	s_or_b32 s8, s8, exec_lo
	s_lshl_b64 s[4:5], s[10:11], 2
	s_delay_alu instid0(SALU_CYCLE_1)
	v_add_co_u32 v1, vcc_lo, v3, s4
	v_add_co_ci_u32_e32 v2, vcc_lo, s5, v4, vcc_lo
; %bb.15:
	s_or_b32 exec_lo, exec_lo, s3
.LBB5_16:
	s_and_saveexec_b32 s3, s8
	s_cbranch_execz .LBB5_18
; %bb.17:
	global_load_b32 v1, v[1:2], off
	s_waitcnt vmcnt(0)
	v_cmp_neq_f32_e32 vcc_lo, 0, v1
	v_add_co_ci_u32_e32 v5, vcc_lo, 0, v5, vcc_lo
.LBB5_18:
	s_or_b32 exec_lo, exec_lo, s3
	v_lshlrev_b32_e32 v1, 2, v0
	v_cmp_eq_u32_e32 vcc_lo, 0, v0
	s_cmpk_lt_i32 s9, 0x100
	s_mov_b32 s3, -1
	ds_store_b32 v1, v5
	s_waitcnt lgkmcnt(0)
	s_cbranch_scc0 .LBB5_29
; %bb.19:
	s_cmp_gt_i32 s9, 1
	s_mov_b32 s5, 1
	s_cselect_b32 s3, -1, 0
	s_barrier
	s_and_b32 s4, vcc_lo, s3
	buffer_gl0_inv
	s_and_saveexec_b32 s3, s4
	s_cbranch_execz .LBB5_28
; %bb.20:
	v_mov_b32_e32 v2, 0
	s_add_i32 s6, s9, -2
	s_add_i32 s4, s9, -1
	s_cmp_lt_u32 s6, 7
	ds_load_b32 v2, v2
	s_cbranch_scc1 .LBB5_24
; %bb.21:
	s_and_b32 s5, s4, -8
	s_mov_b32 s7, 0
	s_mov_b32 s6, 4
	.p2align	6
.LBB5_22:                               ; =>This Inner Loop Header: Depth=1
	s_delay_alu instid0(SALU_CYCLE_1)
	v_mov_b32_e32 v9, s6
	s_mov_b32 s8, s7
	s_add_i32 s7, s7, 8
	s_add_i32 s6, s6, 32
	s_cmp_lg_u32 s5, s7
	ds_load_2addr_b32 v[3:4], v9 offset1:1
	ds_load_2addr_b32 v[5:6], v9 offset0:2 offset1:3
	ds_load_2addr_b32 v[7:8], v9 offset0:4 offset1:5
	;; [unrolled: 1-line block ×3, first 2 shown]
	s_waitcnt lgkmcnt(3)
	v_add_nc_u32_e32 v2, v2, v3
	s_delay_alu instid0(VALU_DEP_1) | instskip(SKIP_1) | instid1(VALU_DEP_1)
	v_add_nc_u32_e32 v2, v2, v4
	s_waitcnt lgkmcnt(2)
	v_add_nc_u32_e32 v2, v2, v5
	s_delay_alu instid0(VALU_DEP_1) | instskip(SKIP_1) | instid1(VALU_DEP_1)
	v_add_nc_u32_e32 v2, v2, v6
	;; [unrolled: 4-line block ×3, first 2 shown]
	s_waitcnt lgkmcnt(0)
	v_add_nc_u32_e32 v2, v2, v9
	s_delay_alu instid0(VALU_DEP_1)
	v_add_nc_u32_e32 v2, v2, v10
	s_cbranch_scc1 .LBB5_22
; %bb.23:
	s_add_i32 s5, s8, 9
.LBB5_24:
	s_and_b32 s4, s4, 7
	s_delay_alu instid0(SALU_CYCLE_1)
	s_cmp_eq_u32 s4, 0
	s_cbranch_scc1 .LBB5_27
; %bb.25:
	s_lshl_b32 s5, s5, 2
.LBB5_26:                               ; =>This Inner Loop Header: Depth=1
	s_delay_alu instid0(SALU_CYCLE_1)
	v_mov_b32_e32 v3, s5
	s_add_i32 s4, s4, -1
	s_add_i32 s5, s5, 4
	s_cmp_lg_u32 s4, 0
	ds_load_b32 v3, v3
	s_waitcnt lgkmcnt(0)
	v_add_nc_u32_e32 v2, v2, v3
	s_cbranch_scc1 .LBB5_26
.LBB5_27:
	v_mov_b32_e32 v3, 0
	s_waitcnt lgkmcnt(0)
	ds_store_b32 v3, v2
.LBB5_28:
	s_or_b32 exec_lo, exec_lo, s3
	s_mov_b32 s3, 0
	s_waitcnt lgkmcnt(0)
	s_barrier
.LBB5_29:
	s_and_b32 vcc_lo, exec_lo, s3
	s_cbranch_vccz .LBB5_47
; %bb.30:
	s_mov_b32 s3, exec_lo
	s_barrier
	buffer_gl0_inv
	v_cmpx_gt_u32_e32 0x80, v0
	s_cbranch_execz .LBB5_32
; %bb.31:
	ds_load_2addr_stride64_b32 v[2:3], v1 offset1:2
	s_waitcnt lgkmcnt(0)
	v_add_nc_u32_e32 v2, v2, v3
	ds_store_b32 v1, v2
.LBB5_32:
	s_or_b32 exec_lo, exec_lo, s3
	s_delay_alu instid0(SALU_CYCLE_1)
	s_mov_b32 s3, exec_lo
	s_waitcnt lgkmcnt(0)
	s_barrier
	buffer_gl0_inv
	v_cmpx_gt_u32_e32 64, v0
	s_cbranch_execz .LBB5_34
; %bb.33:
	ds_load_2addr_stride64_b32 v[2:3], v1 offset1:1
	s_waitcnt lgkmcnt(0)
	v_add_nc_u32_e32 v2, v2, v3
	ds_store_b32 v1, v2
.LBB5_34:
	s_or_b32 exec_lo, exec_lo, s3
	s_delay_alu instid0(SALU_CYCLE_1)
	s_mov_b32 s3, exec_lo
	s_waitcnt lgkmcnt(0)
	s_barrier
	buffer_gl0_inv
	v_cmpx_gt_u32_e32 32, v0
	s_cbranch_execz .LBB5_36
; %bb.35:
	ds_load_2addr_b32 v[2:3], v1 offset1:32
	s_waitcnt lgkmcnt(0)
	v_add_nc_u32_e32 v2, v2, v3
	ds_store_b32 v1, v2
.LBB5_36:
	s_or_b32 exec_lo, exec_lo, s3
	s_delay_alu instid0(SALU_CYCLE_1)
	s_mov_b32 s3, exec_lo
	s_waitcnt lgkmcnt(0)
	s_barrier
	buffer_gl0_inv
	v_cmpx_gt_u32_e32 16, v0
	s_cbranch_execz .LBB5_38
; %bb.37:
	ds_load_2addr_b32 v[2:3], v1 offset1:16
	s_waitcnt lgkmcnt(0)
	v_add_nc_u32_e32 v2, v2, v3
	ds_store_b32 v1, v2
.LBB5_38:
	;; [unrolled: 14-line block ×5, first 2 shown]
	s_or_b32 exec_lo, exec_lo, s3
	s_delay_alu instid0(SALU_CYCLE_1)
	s_mov_b32 s3, exec_lo
	s_waitcnt lgkmcnt(0)
	s_barrier
	buffer_gl0_inv
	v_cmpx_eq_u32_e32 0, v0
	s_cbranch_execz .LBB5_46
; %bb.45:
	v_mov_b32_e32 v3, 0
	ds_load_b64 v[1:2], v3
	s_waitcnt lgkmcnt(0)
	v_add_nc_u32_e32 v1, v1, v2
	ds_store_b32 v3, v1
.LBB5_46:
	s_or_b32 exec_lo, exec_lo, s3
	s_waitcnt lgkmcnt(0)
	s_barrier
.LBB5_47:
	buffer_gl0_inv
	s_mov_b32 s3, exec_lo
	v_cmpx_eq_u32_e32 0, v0
	s_cbranch_execz .LBB5_49
; %bb.48:
	v_mov_b32_e32 v0, 0
	s_load_b64 s[0:1], s[0:1], 0x20
	s_ashr_i32 s3, s2, 31
	s_delay_alu instid0(SALU_CYCLE_1)
	s_lshl_b64 s[2:3], s[2:3], 2
	ds_load_b32 v1, v0
	s_waitcnt lgkmcnt(0)
	s_add_u32 s0, s0, s2
	s_addc_u32 s1, s1, s3
	global_store_b32 v0, v1, s[0:1]
.LBB5_49:
	s_nop 0
	s_sendmsg sendmsg(MSG_DEALLOC_VGPRS)
	s_endpgm
	.section	.rodata,"a",@progbits
	.p2align	6, 0x0
	.amdhsa_kernel _ZN9rocsparseL14nnz_kernel_colILi256EiifEEv16rocsparse_order_T1_S2_PKT2_lPT0_
		.amdhsa_group_segment_fixed_size 1024
		.amdhsa_private_segment_fixed_size 0
		.amdhsa_kernarg_size 40
		.amdhsa_user_sgpr_count 15
		.amdhsa_user_sgpr_dispatch_ptr 0
		.amdhsa_user_sgpr_queue_ptr 0
		.amdhsa_user_sgpr_kernarg_segment_ptr 1
		.amdhsa_user_sgpr_dispatch_id 0
		.amdhsa_user_sgpr_private_segment_size 0
		.amdhsa_wavefront_size32 1
		.amdhsa_uses_dynamic_stack 0
		.amdhsa_enable_private_segment 0
		.amdhsa_system_sgpr_workgroup_id_x 1
		.amdhsa_system_sgpr_workgroup_id_y 0
		.amdhsa_system_sgpr_workgroup_id_z 0
		.amdhsa_system_sgpr_workgroup_info 0
		.amdhsa_system_vgpr_workitem_id 0
		.amdhsa_next_free_vgpr 11
		.amdhsa_next_free_sgpr 16
		.amdhsa_reserve_vcc 1
		.amdhsa_float_round_mode_32 0
		.amdhsa_float_round_mode_16_64 0
		.amdhsa_float_denorm_mode_32 3
		.amdhsa_float_denorm_mode_16_64 3
		.amdhsa_dx10_clamp 1
		.amdhsa_ieee_mode 1
		.amdhsa_fp16_overflow 0
		.amdhsa_workgroup_processor_mode 1
		.amdhsa_memory_ordered 1
		.amdhsa_forward_progress 0
		.amdhsa_shared_vgpr_count 0
		.amdhsa_exception_fp_ieee_invalid_op 0
		.amdhsa_exception_fp_denorm_src 0
		.amdhsa_exception_fp_ieee_div_zero 0
		.amdhsa_exception_fp_ieee_overflow 0
		.amdhsa_exception_fp_ieee_underflow 0
		.amdhsa_exception_fp_ieee_inexact 0
		.amdhsa_exception_int_div_zero 0
	.end_amdhsa_kernel
	.section	.text._ZN9rocsparseL14nnz_kernel_colILi256EiifEEv16rocsparse_order_T1_S2_PKT2_lPT0_,"axG",@progbits,_ZN9rocsparseL14nnz_kernel_colILi256EiifEEv16rocsparse_order_T1_S2_PKT2_lPT0_,comdat
.Lfunc_end5:
	.size	_ZN9rocsparseL14nnz_kernel_colILi256EiifEEv16rocsparse_order_T1_S2_PKT2_lPT0_, .Lfunc_end5-_ZN9rocsparseL14nnz_kernel_colILi256EiifEEv16rocsparse_order_T1_S2_PKT2_lPT0_
                                        ; -- End function
	.section	.AMDGPU.csdata,"",@progbits
; Kernel info:
; codeLenInByte = 1536
; NumSgprs: 18
; NumVgprs: 11
; ScratchSize: 0
; MemoryBound: 0
; FloatMode: 240
; IeeeMode: 1
; LDSByteSize: 1024 bytes/workgroup (compile time only)
; SGPRBlocks: 2
; VGPRBlocks: 1
; NumSGPRsForWavesPerEU: 18
; NumVGPRsForWavesPerEU: 11
; Occupancy: 16
; WaveLimiterHint : 0
; COMPUTE_PGM_RSRC2:SCRATCH_EN: 0
; COMPUTE_PGM_RSRC2:USER_SGPR: 15
; COMPUTE_PGM_RSRC2:TRAP_HANDLER: 0
; COMPUTE_PGM_RSRC2:TGID_X_EN: 1
; COMPUTE_PGM_RSRC2:TGID_Y_EN: 0
; COMPUTE_PGM_RSRC2:TGID_Z_EN: 0
; COMPUTE_PGM_RSRC2:TIDIG_COMP_CNT: 0
	.section	.text._ZN9rocsparseL14nnz_kernel_rowILi64ELi16EiidEEv16rocsparse_order_T2_S2_PKT3_lPT1_,"axG",@progbits,_ZN9rocsparseL14nnz_kernel_rowILi64ELi16EiidEEv16rocsparse_order_T2_S2_PKT3_lPT1_,comdat
	.globl	_ZN9rocsparseL14nnz_kernel_rowILi64ELi16EiidEEv16rocsparse_order_T2_S2_PKT3_lPT1_ ; -- Begin function _ZN9rocsparseL14nnz_kernel_rowILi64ELi16EiidEEv16rocsparse_order_T2_S2_PKT3_lPT1_
	.p2align	8
	.type	_ZN9rocsparseL14nnz_kernel_rowILi64ELi16EiidEEv16rocsparse_order_T2_S2_PKT3_lPT1_,@function
_ZN9rocsparseL14nnz_kernel_rowILi64ELi16EiidEEv16rocsparse_order_T2_S2_PKT3_lPT1_: ; @_ZN9rocsparseL14nnz_kernel_rowILi64ELi16EiidEEv16rocsparse_order_T2_S2_PKT3_lPT1_
; %bb.0:
	s_clause 0x1
	s_load_b32 s2, s[0:1], 0x34
	s_load_b256 s[16:23], s[0:1], 0x0
	s_mov_b32 s8, 0
	s_load_b64 s[6:7], s[0:1], 0x20
	s_mov_b32 s9, s8
	s_mov_b32 s10, s8
	;; [unrolled: 1-line block ×3, first 2 shown]
	v_and_b32_e32 v1, 0x3ff, v0
	v_bfe_u32 v0, v0, 10, 10
	s_lshl_b32 s5, s15, 8
	s_mov_b32 s13, exec_lo
	s_waitcnt lgkmcnt(0)
	s_and_b32 s2, s2, 0xffff
	s_ashr_i32 s0, s18, 31
	v_mad_u32_u24 v12, v0, s2, v1
	s_lshr_b32 s0, s0, 26
	s_delay_alu instid0(SALU_CYCLE_1) | instskip(NEXT) | instid1(VALU_DEP_1)
	s_add_i32 s12, s18, s0
	v_lshrrev_b32_e32 v0, 4, v12
	v_and_b32_e32 v13, 63, v12
	s_and_not1_b32 s12, s12, 63
	s_delay_alu instid0(VALU_DEP_2) | instskip(SKIP_1) | instid1(VALU_DEP_3)
	v_and_b32_e32 v8, 0x7ffffc, v0
	v_dual_mov_b32 v0, s8 :: v_dual_mov_b32 v1, s9
	v_or_b32_e32 v10, s5, v13
	v_dual_mov_b32 v2, s10 :: v_dual_mov_b32 v3, s11
	s_delay_alu instid0(VALU_DEP_2)
	v_or_b32_e32 v16, 64, v10
	v_or_b32_e32 v15, 0x80, v10
	;; [unrolled: 1-line block ×3, first 2 shown]
	v_cmpx_gt_i32_e64 s12, v8
	s_cbranch_execz .LBB6_28
; %bb.1:
	v_lshrrev_b32_e32 v27, 6, v12
	v_cmp_gt_i32_e64 s0, s17, v10
	v_cmp_gt_i32_e64 s1, s17, v16
	;; [unrolled: 1-line block ×4, first 2 shown]
	v_lshlrev_b32_e32 v28, 2, v27
	s_cmp_lg_u32 s16, 1
	s_delay_alu instid0(VALU_DEP_1) | instskip(SKIP_1) | instid1(VALU_DEP_2)
	v_or_b32_e32 v9, 3, v28
	v_or_b32_e32 v31, 2, v28
	v_mad_u64_u32 v[4:5], null, s22, v9, 0
	v_add_nc_u32_e32 v0, s5, v13
	s_delay_alu instid0(VALU_DEP_3) | instskip(NEXT) | instid1(VALU_DEP_2)
	v_mad_u64_u32 v[21:22], null, s22, v31, 0
	v_ashrrev_i32_e32 v1, 31, v0
	s_delay_alu instid0(VALU_DEP_1)
	v_mul_lo_u32 v24, s22, v1
	v_lshlrev_b64 v[6:7], 3, v[0:1]
	v_mov_b32_e32 v1, v5
	v_mul_lo_u32 v11, s23, v0
	v_mad_u64_u32 v[2:3], null, s22, v0, 0
	v_add_nc_u32_e32 v23, 64, v0
	s_delay_alu instid0(VALU_DEP_1) | instskip(NEXT) | instid1(VALU_DEP_3)
	v_ashrrev_i32_e32 v25, 31, v23
	v_add3_u32 v3, v3, v24, v11
	v_mul_lo_u32 v26, s23, v23
	v_mad_u64_u32 v[17:18], null, s23, v9, v[1:2]
	v_mad_u64_u32 v[19:20], null, s22, v23, 0
	v_mul_lo_u32 v9, s22, v25
	v_lshlrev_b64 v[2:3], 3, v[2:3]
	v_dual_mov_b32 v1, v22 :: v_dual_add_nc_u32 v30, 0x80, v0
	v_mov_b32_e32 v5, v17
	v_mad_u64_u32 v[23:24], null, s22, v28, s[22:23]
	v_add3_u32 v20, v20, v9, v26
	s_delay_alu instid0(VALU_DEP_4)
	v_mad_u64_u32 v[25:26], null, s23, v31, v[1:2]
	v_lshlrev_b32_e32 v29, 5, v27
	v_lshlrev_b64 v[4:5], 3, v[4:5]
	v_ashrrev_i32_e32 v32, 31, v30
	v_mul_lo_u32 v31, s23, v30
	v_mov_b32_e32 v22, v25
	v_add_co_u32 v9, vcc_lo, v2, v29
	v_add_co_ci_u32_e32 v11, vcc_lo, 0, v3, vcc_lo
	v_add_co_u32 v17, vcc_lo, v4, v6
	v_add_co_ci_u32_e32 v18, vcc_lo, v5, v7, vcc_lo
	v_lshlrev_b64 v[1:2], 3, v[19:20]
	v_mad_u64_u32 v[4:5], null, s22, v30, 0
	v_mul_lo_u32 v26, s22, v32
	v_mov_b32_e32 v3, v24
	s_delay_alu instid0(VALU_DEP_4) | instskip(SKIP_1) | instid1(VALU_DEP_3)
	v_add_co_u32 v19, vcc_lo, v1, v29
	v_add_co_ci_u32_e32 v20, vcc_lo, 0, v2, vcc_lo
	v_mad_u64_u32 v[24:25], null, s23, v28, v[3:4]
	v_add_nc_u32_e32 v28, 0xc0, v0
	v_lshlrev_b64 v[2:3], 3, v[21:22]
	v_add3_u32 v5, v5, v26, v31
	v_mad_u64_u32 v[0:1], null, s22, v27, 0
	s_delay_alu instid0(VALU_DEP_4)
	v_ashrrev_i32_e32 v25, 31, v28
	v_mul_lo_u32 v31, s23, v28
	v_add_co_u32 v21, vcc_lo, v2, v6
	v_add_co_ci_u32_e32 v22, vcc_lo, v3, v7, vcc_lo
	v_lshlrev_b64 v[2:3], 3, v[4:5]
	v_mul_lo_u32 v30, s22, v25
	v_mad_u64_u32 v[25:26], null, s22, v28, 0
	s_delay_alu instid0(VALU_DEP_3) | instskip(SKIP_2) | instid1(VALU_DEP_4)
	v_mad_u64_u32 v[4:5], null, s23, v27, v[1:2]
	v_lshlrev_b64 v[27:28], 3, v[23:24]
	v_add_co_u32 v23, vcc_lo, v2, v29
	v_add3_u32 v26, v26, v30, v31
	v_add_co_ci_u32_e32 v24, vcc_lo, 0, v3, vcc_lo
	v_mov_b32_e32 v1, v4
	s_delay_alu instid0(VALU_DEP_3) | instskip(SKIP_1) | instid1(VALU_DEP_3)
	v_lshlrev_b64 v[2:3], 3, v[25:26]
	v_add_co_u32 v25, vcc_lo, v27, v6
	v_lshlrev_b64 v[0:1], 5, v[0:1]
	v_add_co_ci_u32_e32 v26, vcc_lo, v28, v7, vcc_lo
	s_delay_alu instid0(VALU_DEP_4) | instskip(SKIP_1) | instid1(VALU_DEP_4)
	v_add_co_u32 v27, vcc_lo, v2, v29
	v_add_co_ci_u32_e32 v28, vcc_lo, 0, v3, vcc_lo
	v_add_co_u32 v29, vcc_lo, v0, v6
	v_add_co_ci_u32_e32 v30, vcc_lo, v1, v7, vcc_lo
	v_mov_b32_e32 v0, s8
	v_dual_mov_b32 v2, s10 :: v_dual_mov_b32 v1, s9
	v_mov_b32_e32 v3, s11
	s_cselect_b32 s9, -1, 0
	s_lshl_b64 s[10:11], s[22:23], 9
	s_branch .LBB6_4
.LBB6_2:                                ;   in Loop: Header=BB6_4 Depth=1
	s_delay_alu instid0(VALU_DEP_1) | instskip(NEXT) | instid1(VALU_DEP_2)
	v_dual_mov_b32 v0, v4 :: v_dual_mov_b32 v1, v5
	v_dual_mov_b32 v2, v6 :: v_dual_mov_b32 v3, v7
.LBB6_3:                                ;   in Loop: Header=BB6_4 Depth=1
	s_or_b32 exec_lo, exec_lo, s4
	v_add_co_u32 v9, vcc_lo, 0x200, v9
	v_add_co_ci_u32_e32 v11, vcc_lo, 0, v11, vcc_lo
	v_add_co_u32 v17, vcc_lo, v17, s10
	v_add_co_ci_u32_e32 v18, vcc_lo, s11, v18, vcc_lo
	;; [unrolled: 2-line block ×5, first 2 shown]
	v_add_co_u32 v25, vcc_lo, v25, s10
	v_add_nc_u32_e32 v8, 64, v8
	v_add_co_ci_u32_e32 v26, vcc_lo, s11, v26, vcc_lo
	v_add_co_u32 v27, vcc_lo, 0x200, v27
	v_add_co_ci_u32_e32 v28, vcc_lo, 0, v28, vcc_lo
	s_delay_alu instid0(VALU_DEP_4) | instskip(SKIP_1) | instid1(VALU_DEP_1)
	v_cmp_le_i32_e32 vcc_lo, s12, v8
	v_add_co_u32 v29, s4, v29, s10
	v_add_co_ci_u32_e64 v30, s4, s11, v30, s4
	s_or_b32 s8, vcc_lo, s8
	s_delay_alu instid0(SALU_CYCLE_1)
	s_and_not1_b32 exec_lo, exec_lo, s8
	s_cbranch_execz .LBB6_27
.LBB6_4:                                ; =>This Inner Loop Header: Depth=1
	s_and_saveexec_b32 s4, s0
	s_cbranch_execnz .LBB6_8
; %bb.5:                                ;   in Loop: Header=BB6_4 Depth=1
	s_or_b32 exec_lo, exec_lo, s4
	s_and_saveexec_b32 s4, s1
	s_cbranch_execnz .LBB6_13
.LBB6_6:                                ;   in Loop: Header=BB6_4 Depth=1
	s_or_b32 exec_lo, exec_lo, s4
	s_and_saveexec_b32 s4, s2
	s_cbranch_execnz .LBB6_18
.LBB6_7:                                ;   in Loop: Header=BB6_4 Depth=1
	s_or_b32 exec_lo, exec_lo, s4
	s_and_saveexec_b32 s4, s3
	s_cbranch_execz .LBB6_3
	s_branch .LBB6_23
.LBB6_8:                                ;   in Loop: Header=BB6_4 Depth=1
	v_add_nc_u32_e32 v31, 1, v0
	s_and_not1_b32 vcc_lo, exec_lo, s9
	s_cbranch_vccnz .LBB6_10
; %bb.9:                                ;   in Loop: Header=BB6_4 Depth=1
	v_add_co_u32 v32, vcc_lo, s20, v9
	v_add_co_ci_u32_e32 v33, vcc_lo, s21, v11, vcc_lo
	s_clause 0x1
	global_load_b128 v[4:7], v[32:33], off
	global_load_b128 v[32:35], v[32:33], off offset:16
	s_waitcnt vmcnt(1)
	v_cmp_neq_f64_e32 vcc_lo, 0, v[4:5]
	v_cndmask_b32_e32 v4, v0, v31, vcc_lo
	v_cmp_neq_f64_e32 vcc_lo, 0, v[6:7]
	s_delay_alu instid0(VALU_DEP_2) | instskip(NEXT) | instid1(VALU_DEP_1)
	v_dual_mov_b32 v6, v2 :: v_dual_add_nc_u32 v5, 1, v4
	v_cndmask_b32_e32 v4, v4, v5, vcc_lo
	s_waitcnt vmcnt(0)
	v_cmp_neq_f64_e32 vcc_lo, 0, v[32:33]
	s_delay_alu instid0(VALU_DEP_2) | instskip(NEXT) | instid1(VALU_DEP_1)
	v_add_nc_u32_e32 v5, 1, v4
	v_cndmask_b32_e32 v4, v4, v5, vcc_lo
	v_cmp_neq_f64_e32 vcc_lo, 0, v[34:35]
	v_mov_b32_e32 v5, v1
	s_delay_alu instid0(VALU_DEP_3) | instskip(NEXT) | instid1(VALU_DEP_1)
	v_add_nc_u32_e32 v7, 1, v4
	v_dual_cndmask_b32 v4, v4, v7 :: v_dual_mov_b32 v7, v3
	s_cbranch_execz .LBB6_11
	s_branch .LBB6_12
.LBB6_10:                               ;   in Loop: Header=BB6_4 Depth=1
                                        ; implicit-def: $vgpr4_vgpr5_vgpr6_vgpr7
.LBB6_11:                               ;   in Loop: Header=BB6_4 Depth=1
	v_add_co_u32 v4, vcc_lo, s20, v29
	v_add_co_ci_u32_e32 v5, vcc_lo, s21, v30, vcc_lo
	v_add_co_u32 v6, vcc_lo, s20, v25
	v_add_co_ci_u32_e32 v7, vcc_lo, s21, v26, vcc_lo
	global_load_b64 v[4:5], v[4:5], off
	v_add_co_u32 v32, vcc_lo, s20, v21
	global_load_b64 v[6:7], v[6:7], off
	v_add_co_ci_u32_e32 v33, vcc_lo, s21, v22, vcc_lo
	v_add_co_u32 v34, vcc_lo, s20, v17
	v_add_co_ci_u32_e32 v35, vcc_lo, s21, v18, vcc_lo
	s_clause 0x1
	global_load_b64 v[32:33], v[32:33], off
	global_load_b64 v[34:35], v[34:35], off
	s_waitcnt vmcnt(3)
	v_cmp_neq_f64_e32 vcc_lo, 0, v[4:5]
	v_cndmask_b32_e32 v0, v0, v31, vcc_lo
	s_waitcnt vmcnt(2)
	v_cmp_neq_f64_e32 vcc_lo, 0, v[6:7]
	s_delay_alu instid0(VALU_DEP_2) | instskip(NEXT) | instid1(VALU_DEP_1)
	v_add_nc_u32_e32 v4, 1, v0
	v_cndmask_b32_e32 v0, v0, v4, vcc_lo
	s_waitcnt vmcnt(1)
	v_cmp_neq_f64_e32 vcc_lo, 0, v[32:33]
	s_delay_alu instid0(VALU_DEP_2) | instskip(NEXT) | instid1(VALU_DEP_1)
	v_add_nc_u32_e32 v4, 1, v0
	;; [unrolled: 5-line block ×3, first 2 shown]
	v_cndmask_b32_e32 v0, v0, v4, vcc_lo
	v_dual_mov_b32 v7, v3 :: v_dual_mov_b32 v6, v2
	s_delay_alu instid0(VALU_DEP_2)
	v_dual_mov_b32 v5, v1 :: v_dual_mov_b32 v4, v0
.LBB6_12:                               ;   in Loop: Header=BB6_4 Depth=1
	s_delay_alu instid0(VALU_DEP_1) | instskip(NEXT) | instid1(VALU_DEP_2)
	v_dual_mov_b32 v0, v4 :: v_dual_mov_b32 v1, v5
	v_dual_mov_b32 v2, v6 :: v_dual_mov_b32 v3, v7
	s_or_b32 exec_lo, exec_lo, s4
	s_and_saveexec_b32 s4, s1
	s_cbranch_execz .LBB6_6
.LBB6_13:                               ;   in Loop: Header=BB6_4 Depth=1
	v_add_nc_u32_e32 v31, 1, v1
	s_and_not1_b32 vcc_lo, exec_lo, s9
	s_cbranch_vccnz .LBB6_15
; %bb.14:                               ;   in Loop: Header=BB6_4 Depth=1
	v_add_co_u32 v32, vcc_lo, s20, v19
	v_add_co_ci_u32_e32 v33, vcc_lo, s21, v20, vcc_lo
	s_clause 0x1
	global_load_b128 v[4:7], v[32:33], off
	global_load_b128 v[32:35], v[32:33], off offset:16
	s_waitcnt vmcnt(1)
	v_cmp_neq_f64_e32 vcc_lo, 0, v[4:5]
	v_cndmask_b32_e32 v4, v1, v31, vcc_lo
	v_cmp_neq_f64_e32 vcc_lo, 0, v[6:7]
	s_delay_alu instid0(VALU_DEP_2) | instskip(NEXT) | instid1(VALU_DEP_1)
	v_dual_mov_b32 v6, v2 :: v_dual_add_nc_u32 v5, 1, v4
	v_cndmask_b32_e32 v4, v4, v5, vcc_lo
	s_waitcnt vmcnt(0)
	v_cmp_neq_f64_e32 vcc_lo, 0, v[32:33]
	s_delay_alu instid0(VALU_DEP_2) | instskip(NEXT) | instid1(VALU_DEP_1)
	v_add_nc_u32_e32 v5, 1, v4
	v_cndmask_b32_e32 v5, v4, v5, vcc_lo
	v_cmp_neq_f64_e32 vcc_lo, 0, v[34:35]
	s_delay_alu instid0(VALU_DEP_2) | instskip(NEXT) | instid1(VALU_DEP_1)
	v_dual_mov_b32 v4, v0 :: v_dual_add_nc_u32 v7, 1, v5
	v_cndmask_b32_e32 v5, v5, v7, vcc_lo
	v_mov_b32_e32 v7, v3
	s_cbranch_execz .LBB6_16
	s_branch .LBB6_17
.LBB6_15:                               ;   in Loop: Header=BB6_4 Depth=1
                                        ; implicit-def: $vgpr4_vgpr5_vgpr6_vgpr7
.LBB6_16:                               ;   in Loop: Header=BB6_4 Depth=1
	v_add_co_u32 v4, vcc_lo, s20, v29
	v_add_co_ci_u32_e32 v5, vcc_lo, s21, v30, vcc_lo
	v_add_co_u32 v6, vcc_lo, s20, v25
	v_add_co_ci_u32_e32 v7, vcc_lo, s21, v26, vcc_lo
	global_load_b64 v[4:5], v[4:5], off offset:512
	v_add_co_u32 v32, vcc_lo, s20, v21
	global_load_b64 v[6:7], v[6:7], off offset:512
	v_add_co_ci_u32_e32 v33, vcc_lo, s21, v22, vcc_lo
	v_add_co_u32 v34, vcc_lo, s20, v17
	v_add_co_ci_u32_e32 v35, vcc_lo, s21, v18, vcc_lo
	s_clause 0x1
	global_load_b64 v[32:33], v[32:33], off offset:512
	global_load_b64 v[34:35], v[34:35], off offset:512
	s_waitcnt vmcnt(3)
	v_cmp_neq_f64_e32 vcc_lo, 0, v[4:5]
	v_cndmask_b32_e32 v1, v1, v31, vcc_lo
	s_waitcnt vmcnt(2)
	v_cmp_neq_f64_e32 vcc_lo, 0, v[6:7]
	s_delay_alu instid0(VALU_DEP_2) | instskip(NEXT) | instid1(VALU_DEP_1)
	v_add_nc_u32_e32 v4, 1, v1
	v_cndmask_b32_e32 v1, v1, v4, vcc_lo
	s_waitcnt vmcnt(1)
	v_cmp_neq_f64_e32 vcc_lo, 0, v[32:33]
	s_delay_alu instid0(VALU_DEP_2) | instskip(NEXT) | instid1(VALU_DEP_1)
	v_add_nc_u32_e32 v4, 1, v1
	;; [unrolled: 5-line block ×3, first 2 shown]
	v_cndmask_b32_e32 v1, v1, v4, vcc_lo
	v_dual_mov_b32 v7, v3 :: v_dual_mov_b32 v6, v2
	s_delay_alu instid0(VALU_DEP_2)
	v_dual_mov_b32 v4, v0 :: v_dual_mov_b32 v5, v1
.LBB6_17:                               ;   in Loop: Header=BB6_4 Depth=1
	s_delay_alu instid0(VALU_DEP_1) | instskip(NEXT) | instid1(VALU_DEP_2)
	v_dual_mov_b32 v0, v4 :: v_dual_mov_b32 v1, v5
	v_dual_mov_b32 v2, v6 :: v_dual_mov_b32 v3, v7
	s_or_b32 exec_lo, exec_lo, s4
	s_and_saveexec_b32 s4, s2
	s_cbranch_execz .LBB6_7
.LBB6_18:                               ;   in Loop: Header=BB6_4 Depth=1
	s_delay_alu instid0(VALU_DEP_1)
	v_add_nc_u32_e32 v31, 1, v2
	s_and_not1_b32 vcc_lo, exec_lo, s9
	s_cbranch_vccnz .LBB6_20
; %bb.19:                               ;   in Loop: Header=BB6_4 Depth=1
	v_add_co_u32 v32, vcc_lo, s20, v23
	v_add_co_ci_u32_e32 v33, vcc_lo, s21, v24, vcc_lo
	s_clause 0x1
	global_load_b128 v[4:7], v[32:33], off
	global_load_b128 v[32:35], v[32:33], off offset:16
	s_waitcnt vmcnt(1)
	v_cmp_neq_f64_e32 vcc_lo, 0, v[4:5]
	v_cndmask_b32_e32 v4, v2, v31, vcc_lo
	v_cmp_neq_f64_e32 vcc_lo, 0, v[6:7]
	s_delay_alu instid0(VALU_DEP_2) | instskip(NEXT) | instid1(VALU_DEP_1)
	v_add_nc_u32_e32 v5, 1, v4
	v_cndmask_b32_e32 v4, v4, v5, vcc_lo
	s_waitcnt vmcnt(0)
	v_cmp_neq_f64_e32 vcc_lo, 0, v[32:33]
	s_delay_alu instid0(VALU_DEP_2) | instskip(NEXT) | instid1(VALU_DEP_1)
	v_add_nc_u32_e32 v5, 1, v4
	v_cndmask_b32_e32 v6, v4, v5, vcc_lo
	v_cmp_neq_f64_e32 vcc_lo, 0, v[34:35]
	v_dual_mov_b32 v4, v0 :: v_dual_mov_b32 v5, v1
	s_delay_alu instid0(VALU_DEP_3) | instskip(NEXT) | instid1(VALU_DEP_1)
	v_add_nc_u32_e32 v7, 1, v6
	v_dual_cndmask_b32 v6, v6, v7 :: v_dual_mov_b32 v7, v3
	s_cbranch_execz .LBB6_21
	s_branch .LBB6_22
.LBB6_20:                               ;   in Loop: Header=BB6_4 Depth=1
                                        ; implicit-def: $vgpr4_vgpr5_vgpr6_vgpr7
.LBB6_21:                               ;   in Loop: Header=BB6_4 Depth=1
	v_add_co_u32 v4, vcc_lo, s20, v29
	v_add_co_ci_u32_e32 v5, vcc_lo, s21, v30, vcc_lo
	v_add_co_u32 v6, vcc_lo, s20, v25
	v_add_co_ci_u32_e32 v7, vcc_lo, s21, v26, vcc_lo
	global_load_b64 v[4:5], v[4:5], off offset:1024
	v_add_co_u32 v32, vcc_lo, s20, v21
	global_load_b64 v[6:7], v[6:7], off offset:1024
	v_add_co_ci_u32_e32 v33, vcc_lo, s21, v22, vcc_lo
	v_add_co_u32 v34, vcc_lo, s20, v17
	v_add_co_ci_u32_e32 v35, vcc_lo, s21, v18, vcc_lo
	s_clause 0x1
	global_load_b64 v[32:33], v[32:33], off offset:1024
	global_load_b64 v[34:35], v[34:35], off offset:1024
	s_waitcnt vmcnt(3)
	v_cmp_neq_f64_e32 vcc_lo, 0, v[4:5]
	v_cndmask_b32_e32 v2, v2, v31, vcc_lo
	s_waitcnt vmcnt(2)
	v_cmp_neq_f64_e32 vcc_lo, 0, v[6:7]
	s_delay_alu instid0(VALU_DEP_2) | instskip(NEXT) | instid1(VALU_DEP_1)
	v_add_nc_u32_e32 v4, 1, v2
	v_cndmask_b32_e32 v2, v2, v4, vcc_lo
	s_waitcnt vmcnt(1)
	v_cmp_neq_f64_e32 vcc_lo, 0, v[32:33]
	s_delay_alu instid0(VALU_DEP_2) | instskip(NEXT) | instid1(VALU_DEP_1)
	v_add_nc_u32_e32 v4, 1, v2
	;; [unrolled: 5-line block ×3, first 2 shown]
	v_cndmask_b32_e32 v2, v2, v4, vcc_lo
	v_mov_b32_e32 v7, v3
	v_dual_mov_b32 v5, v1 :: v_dual_mov_b32 v4, v0
	s_delay_alu instid0(VALU_DEP_3)
	v_mov_b32_e32 v6, v2
.LBB6_22:                               ;   in Loop: Header=BB6_4 Depth=1
	s_delay_alu instid0(VALU_DEP_2) | instskip(NEXT) | instid1(VALU_DEP_2)
	v_dual_mov_b32 v0, v4 :: v_dual_mov_b32 v1, v5
	v_dual_mov_b32 v2, v6 :: v_dual_mov_b32 v3, v7
	s_or_b32 exec_lo, exec_lo, s4
	s_and_saveexec_b32 s4, s3
	s_cbranch_execz .LBB6_3
.LBB6_23:                               ;   in Loop: Header=BB6_4 Depth=1
	s_delay_alu instid0(VALU_DEP_1)
	v_add_nc_u32_e32 v31, 1, v3
	s_and_not1_b32 vcc_lo, exec_lo, s9
	s_cbranch_vccnz .LBB6_25
; %bb.24:                               ;   in Loop: Header=BB6_4 Depth=1
	v_add_co_u32 v32, vcc_lo, s20, v27
	v_add_co_ci_u32_e32 v33, vcc_lo, s21, v28, vcc_lo
	s_clause 0x1
	global_load_b128 v[4:7], v[32:33], off
	global_load_b128 v[32:35], v[32:33], off offset:16
	s_waitcnt vmcnt(1)
	v_cmp_neq_f64_e32 vcc_lo, 0, v[4:5]
	v_cndmask_b32_e32 v4, v3, v31, vcc_lo
	v_cmp_neq_f64_e32 vcc_lo, 0, v[6:7]
	s_delay_alu instid0(VALU_DEP_2) | instskip(NEXT) | instid1(VALU_DEP_1)
	v_add_nc_u32_e32 v5, 1, v4
	v_cndmask_b32_e32 v4, v4, v5, vcc_lo
	s_waitcnt vmcnt(0)
	v_cmp_neq_f64_e32 vcc_lo, 0, v[32:33]
	s_delay_alu instid0(VALU_DEP_2) | instskip(NEXT) | instid1(VALU_DEP_1)
	v_add_nc_u32_e32 v5, 1, v4
	v_cndmask_b32_e32 v6, v4, v5, vcc_lo
	v_cmp_neq_f64_e32 vcc_lo, 0, v[34:35]
	v_dual_mov_b32 v4, v0 :: v_dual_mov_b32 v5, v1
	s_delay_alu instid0(VALU_DEP_3) | instskip(NEXT) | instid1(VALU_DEP_1)
	v_add_nc_u32_e32 v7, 1, v6
	v_cndmask_b32_e32 v7, v6, v7, vcc_lo
	v_mov_b32_e32 v6, v2
	s_cbranch_execnz .LBB6_2
	s_branch .LBB6_26
.LBB6_25:                               ;   in Loop: Header=BB6_4 Depth=1
                                        ; implicit-def: $vgpr4_vgpr5_vgpr6_vgpr7
.LBB6_26:                               ;   in Loop: Header=BB6_4 Depth=1
	v_add_co_u32 v4, vcc_lo, s20, v29
	v_add_co_ci_u32_e32 v5, vcc_lo, s21, v30, vcc_lo
	v_add_co_u32 v6, vcc_lo, s20, v25
	v_add_co_ci_u32_e32 v7, vcc_lo, s21, v26, vcc_lo
	global_load_b64 v[4:5], v[4:5], off offset:1536
	v_add_co_u32 v32, vcc_lo, s20, v21
	global_load_b64 v[6:7], v[6:7], off offset:1536
	v_add_co_ci_u32_e32 v33, vcc_lo, s21, v22, vcc_lo
	v_add_co_u32 v34, vcc_lo, s20, v17
	v_add_co_ci_u32_e32 v35, vcc_lo, s21, v18, vcc_lo
	s_clause 0x1
	global_load_b64 v[32:33], v[32:33], off offset:1536
	global_load_b64 v[34:35], v[34:35], off offset:1536
	s_waitcnt vmcnt(3)
	v_cmp_neq_f64_e32 vcc_lo, 0, v[4:5]
	v_cndmask_b32_e32 v3, v3, v31, vcc_lo
	s_waitcnt vmcnt(2)
	v_cmp_neq_f64_e32 vcc_lo, 0, v[6:7]
	s_delay_alu instid0(VALU_DEP_2) | instskip(NEXT) | instid1(VALU_DEP_1)
	v_add_nc_u32_e32 v4, 1, v3
	v_cndmask_b32_e32 v3, v3, v4, vcc_lo
	s_waitcnt vmcnt(1)
	v_cmp_neq_f64_e32 vcc_lo, 0, v[32:33]
	s_delay_alu instid0(VALU_DEP_2) | instskip(NEXT) | instid1(VALU_DEP_1)
	v_add_nc_u32_e32 v4, 1, v3
	;; [unrolled: 5-line block ×3, first 2 shown]
	v_cndmask_b32_e32 v3, v3, v4, vcc_lo
	s_delay_alu instid0(VALU_DEP_1)
	v_dual_mov_b32 v7, v3 :: v_dual_mov_b32 v6, v2
	v_dual_mov_b32 v5, v1 :: v_dual_mov_b32 v4, v0
	s_branch .LBB6_2
.LBB6_27:
	s_or_b32 exec_lo, exec_lo, s8
.LBB6_28:
	s_delay_alu instid0(SALU_CYCLE_1) | instskip(SKIP_1) | instid1(SALU_CYCLE_1)
	s_or_b32 exec_lo, exec_lo, s13
	s_sub_i32 s0, s18, s12
	s_cmp_lt_i32 s0, 1
	s_cbranch_scc1 .LBB6_126
; %bb.29:
	v_mov_b32_e32 v9, 0
	s_cmp_eq_u32 s16, 1
	v_ashrrev_i32_e32 v11, 31, v10
	s_cselect_b32 s1, -1, 0
	s_cmp_lg_u32 s16, 1
	v_lshlrev_b64 v[4:5], 3, v[8:9]
	s_mov_b32 s2, exec_lo
	s_delay_alu instid0(VALU_DEP_1) | instskip(NEXT) | instid1(VALU_DEP_1)
	v_add_co_u32 v9, s0, s20, v4
	v_add_co_ci_u32_e64 v17, s0, s21, v5, s0
	s_cselect_b32 s0, -1, 0
	v_cmpx_gt_i32_e64 s17, v10
	s_cbranch_execnz .LBB6_33
; %bb.30:
	s_or_b32 exec_lo, exec_lo, s2
	s_delay_alu instid0(SALU_CYCLE_1)
	s_mov_b32 s2, exec_lo
	v_cmpx_gt_i32_e64 s17, v16
	s_cbranch_execnz .LBB6_56
.LBB6_31:
	s_or_b32 exec_lo, exec_lo, s2
	s_delay_alu instid0(SALU_CYCLE_1)
	s_mov_b32 s2, exec_lo
	v_cmpx_gt_i32_e64 s17, v15
	s_cbranch_execnz .LBB6_79
.LBB6_32:
	s_or_b32 exec_lo, exec_lo, s2
	s_delay_alu instid0(SALU_CYCLE_1)
	s_mov_b32 s2, exec_lo
	v_cmpx_gt_i32_e64 s17, v14
	s_cbranch_execnz .LBB6_102
	s_branch .LBB6_125
.LBB6_33:
	v_mul_lo_u32 v6, v10, s23
	v_mul_lo_u32 v7, v11, s22
	v_mad_u64_u32 v[4:5], null, v10, s22, 0
	s_mov_b32 s3, exec_lo
	s_delay_alu instid0(VALU_DEP_1) | instskip(SKIP_1) | instid1(VALU_DEP_2)
	v_add3_u32 v5, v5, v6, v7
	v_lshlrev_b64 v[6:7], 3, v[10:11]
	v_lshlrev_b64 v[4:5], 3, v[4:5]
	s_delay_alu instid0(VALU_DEP_2) | instskip(NEXT) | instid1(VALU_DEP_3)
	v_add_co_u32 v18, vcc_lo, s20, v6
	v_add_co_ci_u32_e32 v19, vcc_lo, s21, v7, vcc_lo
	s_delay_alu instid0(VALU_DEP_3) | instskip(NEXT) | instid1(VALU_DEP_4)
	v_add_co_u32 v4, vcc_lo, v9, v4
	v_add_co_ci_u32_e32 v5, vcc_lo, v17, v5, vcc_lo
	v_cmpx_gt_i32_e64 s18, v8
	s_cbranch_execz .LBB6_37
; %bb.34:
	s_delay_alu instid0(VALU_DEP_2)
	v_dual_mov_b32 v7, v5 :: v_dual_mov_b32 v6, v4
	s_and_not1_b32 vcc_lo, exec_lo, s1
	s_cbranch_vccnz .LBB6_36
; %bb.35:
	v_mad_u64_u32 v[6:7], null, v8, s22, 0
	s_delay_alu instid0(VALU_DEP_1) | instskip(NEXT) | instid1(VALU_DEP_1)
	v_mad_u64_u32 v[20:21], null, v8, s23, v[7:8]
	v_mov_b32_e32 v7, v20
	s_delay_alu instid0(VALU_DEP_1) | instskip(NEXT) | instid1(VALU_DEP_1)
	v_lshlrev_b64 v[6:7], 3, v[6:7]
	v_add_co_u32 v6, vcc_lo, v18, v6
	s_delay_alu instid0(VALU_DEP_2)
	v_add_co_ci_u32_e32 v7, vcc_lo, v19, v7, vcc_lo
.LBB6_36:
	global_load_b64 v[6:7], v[6:7], off
	s_waitcnt vmcnt(0)
	v_cmp_neq_f64_e32 vcc_lo, 0, v[6:7]
	v_add_co_ci_u32_e32 v0, vcc_lo, 0, v0, vcc_lo
.LBB6_37:
	s_or_b32 exec_lo, exec_lo, s3
	v_or_b32_e32 v20, 1, v8
	s_mov_b32 s3, exec_lo
	s_delay_alu instid0(VALU_DEP_1)
	v_cmpx_gt_i32_e64 s18, v20
	s_cbranch_execz .LBB6_43
; %bb.38:
	s_and_not1_b32 vcc_lo, exec_lo, s0
	s_cbranch_vccnz .LBB6_40
; %bb.39:
	v_add_co_u32 v6, vcc_lo, v4, 8
	v_add_co_ci_u32_e32 v7, vcc_lo, 0, v5, vcc_lo
	s_cbranch_execz .LBB6_41
	s_branch .LBB6_42
.LBB6_40:
                                        ; implicit-def: $vgpr6_vgpr7
.LBB6_41:
	v_mad_u64_u32 v[6:7], null, v20, s22, 0
	s_delay_alu instid0(VALU_DEP_1) | instskip(NEXT) | instid1(VALU_DEP_1)
	v_mad_u64_u32 v[21:22], null, v20, s23, v[7:8]
	v_mov_b32_e32 v7, v21
	s_delay_alu instid0(VALU_DEP_1) | instskip(NEXT) | instid1(VALU_DEP_1)
	v_lshlrev_b64 v[6:7], 3, v[6:7]
	v_add_co_u32 v6, vcc_lo, v18, v6
	s_delay_alu instid0(VALU_DEP_2)
	v_add_co_ci_u32_e32 v7, vcc_lo, v19, v7, vcc_lo
.LBB6_42:
	global_load_b64 v[6:7], v[6:7], off
	s_waitcnt vmcnt(0)
	v_cmp_neq_f64_e32 vcc_lo, 0, v[6:7]
	v_add_co_ci_u32_e32 v0, vcc_lo, 0, v0, vcc_lo
.LBB6_43:
	s_or_b32 exec_lo, exec_lo, s3
	v_or_b32_e32 v20, 2, v8
	s_mov_b32 s3, exec_lo
	s_delay_alu instid0(VALU_DEP_1)
	v_cmpx_gt_i32_e64 s18, v20
	s_cbranch_execz .LBB6_49
; %bb.44:
	s_and_not1_b32 vcc_lo, exec_lo, s0
	s_cbranch_vccnz .LBB6_46
; %bb.45:
	v_add_co_u32 v6, vcc_lo, v4, 16
	v_add_co_ci_u32_e32 v7, vcc_lo, 0, v5, vcc_lo
	s_cbranch_execz .LBB6_47
	s_branch .LBB6_48
.LBB6_46:
                                        ; implicit-def: $vgpr6_vgpr7
.LBB6_47:
	v_mad_u64_u32 v[6:7], null, v20, s22, 0
	s_delay_alu instid0(VALU_DEP_1) | instskip(NEXT) | instid1(VALU_DEP_1)
	v_mad_u64_u32 v[21:22], null, v20, s23, v[7:8]
	v_mov_b32_e32 v7, v21
	s_delay_alu instid0(VALU_DEP_1) | instskip(NEXT) | instid1(VALU_DEP_1)
	v_lshlrev_b64 v[6:7], 3, v[6:7]
	v_add_co_u32 v6, vcc_lo, v18, v6
	s_delay_alu instid0(VALU_DEP_2)
	v_add_co_ci_u32_e32 v7, vcc_lo, v19, v7, vcc_lo
.LBB6_48:
	global_load_b64 v[6:7], v[6:7], off
	s_waitcnt vmcnt(0)
	v_cmp_neq_f64_e32 vcc_lo, 0, v[6:7]
	v_add_co_ci_u32_e32 v0, vcc_lo, 0, v0, vcc_lo
.LBB6_49:
	s_or_b32 exec_lo, exec_lo, s3
	v_or_b32_e32 v6, 3, v8
	s_mov_b32 s3, exec_lo
	s_delay_alu instid0(VALU_DEP_1)
	v_cmpx_gt_i32_e64 s18, v6
	s_cbranch_execz .LBB6_55
; %bb.50:
	s_and_not1_b32 vcc_lo, exec_lo, s0
	s_cbranch_vccnz .LBB6_52
; %bb.51:
	v_add_co_u32 v4, vcc_lo, v4, 24
	v_add_co_ci_u32_e32 v5, vcc_lo, 0, v5, vcc_lo
	s_cbranch_execz .LBB6_53
	s_branch .LBB6_54
.LBB6_52:
                                        ; implicit-def: $vgpr4_vgpr5
.LBB6_53:
	v_mad_u64_u32 v[4:5], null, v6, s22, 0
	s_delay_alu instid0(VALU_DEP_1) | instskip(NEXT) | instid1(VALU_DEP_1)
	v_mad_u64_u32 v[20:21], null, v6, s23, v[5:6]
	v_mov_b32_e32 v5, v20
	s_delay_alu instid0(VALU_DEP_1) | instskip(NEXT) | instid1(VALU_DEP_1)
	v_lshlrev_b64 v[4:5], 3, v[4:5]
	v_add_co_u32 v4, vcc_lo, v18, v4
	s_delay_alu instid0(VALU_DEP_2)
	v_add_co_ci_u32_e32 v5, vcc_lo, v19, v5, vcc_lo
.LBB6_54:
	global_load_b64 v[4:5], v[4:5], off
	s_waitcnt vmcnt(0)
	v_cmp_neq_f64_e32 vcc_lo, 0, v[4:5]
	v_add_co_ci_u32_e32 v0, vcc_lo, 0, v0, vcc_lo
.LBB6_55:
	s_or_b32 exec_lo, exec_lo, s3
	s_delay_alu instid0(SALU_CYCLE_1) | instskip(NEXT) | instid1(SALU_CYCLE_1)
	s_or_b32 exec_lo, exec_lo, s2
	s_mov_b32 s2, exec_lo
	v_cmpx_gt_i32_e64 s17, v16
	s_cbranch_execz .LBB6_31
.LBB6_56:
	v_ashrrev_i32_e32 v6, 31, v16
	v_mul_lo_u32 v7, v16, s23
	v_mad_u64_u32 v[4:5], null, v16, s22, 0
	s_mov_b32 s3, exec_lo
	s_delay_alu instid0(VALU_DEP_3) | instskip(NEXT) | instid1(VALU_DEP_1)
	v_mul_lo_u32 v6, v6, s22
	v_add3_u32 v5, v5, v7, v6
	v_lshlrev_b64 v[6:7], 3, v[10:11]
	s_delay_alu instid0(VALU_DEP_2) | instskip(NEXT) | instid1(VALU_DEP_2)
	v_lshlrev_b64 v[4:5], 3, v[4:5]
	v_add_co_u32 v16, vcc_lo, s20, v6
	s_delay_alu instid0(VALU_DEP_3) | instskip(NEXT) | instid1(VALU_DEP_3)
	v_add_co_ci_u32_e32 v18, vcc_lo, s21, v7, vcc_lo
	v_add_co_u32 v4, vcc_lo, v9, v4
	s_delay_alu instid0(VALU_DEP_4)
	v_add_co_ci_u32_e32 v5, vcc_lo, v17, v5, vcc_lo
	v_cmpx_gt_i32_e64 s18, v8
	s_cbranch_execz .LBB6_60
; %bb.57:
	s_delay_alu instid0(VALU_DEP_2)
	v_dual_mov_b32 v7, v5 :: v_dual_mov_b32 v6, v4
	s_and_not1_b32 vcc_lo, exec_lo, s1
	s_cbranch_vccnz .LBB6_59
; %bb.58:
	v_mad_u64_u32 v[6:7], null, v8, s22, 0
	s_delay_alu instid0(VALU_DEP_1) | instskip(NEXT) | instid1(VALU_DEP_1)
	v_mad_u64_u32 v[19:20], null, v8, s23, v[7:8]
	v_mov_b32_e32 v7, v19
	s_delay_alu instid0(VALU_DEP_1) | instskip(NEXT) | instid1(VALU_DEP_1)
	v_lshlrev_b64 v[6:7], 3, v[6:7]
	v_add_co_u32 v6, vcc_lo, v16, v6
	s_delay_alu instid0(VALU_DEP_2) | instskip(NEXT) | instid1(VALU_DEP_2)
	v_add_co_ci_u32_e32 v7, vcc_lo, v18, v7, vcc_lo
	v_add_co_u32 v6, vcc_lo, 0x200, v6
	s_delay_alu instid0(VALU_DEP_2)
	v_add_co_ci_u32_e32 v7, vcc_lo, 0, v7, vcc_lo
.LBB6_59:
	global_load_b64 v[6:7], v[6:7], off
	s_waitcnt vmcnt(0)
	v_cmp_neq_f64_e32 vcc_lo, 0, v[6:7]
	v_add_co_ci_u32_e32 v1, vcc_lo, 0, v1, vcc_lo
.LBB6_60:
	s_or_b32 exec_lo, exec_lo, s3
	v_or_b32_e32 v19, 1, v8
	s_mov_b32 s3, exec_lo
	s_delay_alu instid0(VALU_DEP_1)
	v_cmpx_gt_i32_e64 s18, v19
	s_cbranch_execz .LBB6_66
; %bb.61:
	s_and_not1_b32 vcc_lo, exec_lo, s0
	s_cbranch_vccnz .LBB6_63
; %bb.62:
	v_add_co_u32 v6, vcc_lo, v4, 8
	v_add_co_ci_u32_e32 v7, vcc_lo, 0, v5, vcc_lo
	s_cbranch_execz .LBB6_64
	s_branch .LBB6_65
.LBB6_63:
                                        ; implicit-def: $vgpr6_vgpr7
.LBB6_64:
	v_mad_u64_u32 v[6:7], null, v19, s22, 0
	s_delay_alu instid0(VALU_DEP_1) | instskip(NEXT) | instid1(VALU_DEP_1)
	v_mad_u64_u32 v[20:21], null, v19, s23, v[7:8]
	v_mov_b32_e32 v7, v20
	s_delay_alu instid0(VALU_DEP_1) | instskip(NEXT) | instid1(VALU_DEP_1)
	v_lshlrev_b64 v[6:7], 3, v[6:7]
	v_add_co_u32 v6, vcc_lo, v16, v6
	s_delay_alu instid0(VALU_DEP_2) | instskip(NEXT) | instid1(VALU_DEP_2)
	v_add_co_ci_u32_e32 v7, vcc_lo, v18, v7, vcc_lo
	v_add_co_u32 v6, vcc_lo, 0x200, v6
	s_delay_alu instid0(VALU_DEP_2)
	v_add_co_ci_u32_e32 v7, vcc_lo, 0, v7, vcc_lo
.LBB6_65:
	global_load_b64 v[6:7], v[6:7], off
	s_waitcnt vmcnt(0)
	v_cmp_neq_f64_e32 vcc_lo, 0, v[6:7]
	v_add_co_ci_u32_e32 v1, vcc_lo, 0, v1, vcc_lo
.LBB6_66:
	s_or_b32 exec_lo, exec_lo, s3
	v_or_b32_e32 v19, 2, v8
	s_mov_b32 s3, exec_lo
	s_delay_alu instid0(VALU_DEP_1)
	v_cmpx_gt_i32_e64 s18, v19
	s_cbranch_execz .LBB6_72
; %bb.67:
	s_and_not1_b32 vcc_lo, exec_lo, s0
	s_cbranch_vccnz .LBB6_69
; %bb.68:
	v_add_co_u32 v6, vcc_lo, v4, 16
	v_add_co_ci_u32_e32 v7, vcc_lo, 0, v5, vcc_lo
	s_cbranch_execz .LBB6_70
	s_branch .LBB6_71
.LBB6_69:
                                        ; implicit-def: $vgpr6_vgpr7
.LBB6_70:
	v_mad_u64_u32 v[6:7], null, v19, s22, 0
	s_delay_alu instid0(VALU_DEP_1) | instskip(NEXT) | instid1(VALU_DEP_1)
	v_mad_u64_u32 v[20:21], null, v19, s23, v[7:8]
	v_mov_b32_e32 v7, v20
	s_delay_alu instid0(VALU_DEP_1) | instskip(NEXT) | instid1(VALU_DEP_1)
	v_lshlrev_b64 v[6:7], 3, v[6:7]
	v_add_co_u32 v6, vcc_lo, v16, v6
	s_delay_alu instid0(VALU_DEP_2) | instskip(NEXT) | instid1(VALU_DEP_2)
	v_add_co_ci_u32_e32 v7, vcc_lo, v18, v7, vcc_lo
	v_add_co_u32 v6, vcc_lo, 0x200, v6
	s_delay_alu instid0(VALU_DEP_2)
	v_add_co_ci_u32_e32 v7, vcc_lo, 0, v7, vcc_lo
.LBB6_71:
	global_load_b64 v[6:7], v[6:7], off
	s_waitcnt vmcnt(0)
	v_cmp_neq_f64_e32 vcc_lo, 0, v[6:7]
	v_add_co_ci_u32_e32 v1, vcc_lo, 0, v1, vcc_lo
.LBB6_72:
	s_or_b32 exec_lo, exec_lo, s3
	v_or_b32_e32 v6, 3, v8
	s_mov_b32 s3, exec_lo
	s_delay_alu instid0(VALU_DEP_1)
	v_cmpx_gt_i32_e64 s18, v6
	s_cbranch_execz .LBB6_78
; %bb.73:
	s_and_not1_b32 vcc_lo, exec_lo, s0
	s_cbranch_vccnz .LBB6_75
; %bb.74:
	v_add_co_u32 v4, vcc_lo, v4, 24
	v_add_co_ci_u32_e32 v5, vcc_lo, 0, v5, vcc_lo
	s_cbranch_execz .LBB6_76
	s_branch .LBB6_77
.LBB6_75:
                                        ; implicit-def: $vgpr4_vgpr5
.LBB6_76:
	v_mad_u64_u32 v[4:5], null, v6, s22, 0
	s_delay_alu instid0(VALU_DEP_1) | instskip(NEXT) | instid1(VALU_DEP_1)
	v_mad_u64_u32 v[19:20], null, v6, s23, v[5:6]
	v_mov_b32_e32 v5, v19
	s_delay_alu instid0(VALU_DEP_1) | instskip(NEXT) | instid1(VALU_DEP_1)
	v_lshlrev_b64 v[4:5], 3, v[4:5]
	v_add_co_u32 v4, vcc_lo, v16, v4
	s_delay_alu instid0(VALU_DEP_2) | instskip(NEXT) | instid1(VALU_DEP_2)
	v_add_co_ci_u32_e32 v5, vcc_lo, v18, v5, vcc_lo
	v_add_co_u32 v4, vcc_lo, 0x200, v4
	s_delay_alu instid0(VALU_DEP_2)
	v_add_co_ci_u32_e32 v5, vcc_lo, 0, v5, vcc_lo
.LBB6_77:
	global_load_b64 v[4:5], v[4:5], off
	s_waitcnt vmcnt(0)
	v_cmp_neq_f64_e32 vcc_lo, 0, v[4:5]
	v_add_co_ci_u32_e32 v1, vcc_lo, 0, v1, vcc_lo
.LBB6_78:
	s_or_b32 exec_lo, exec_lo, s3
	s_delay_alu instid0(SALU_CYCLE_1) | instskip(NEXT) | instid1(SALU_CYCLE_1)
	s_or_b32 exec_lo, exec_lo, s2
	s_mov_b32 s2, exec_lo
	v_cmpx_gt_i32_e64 s17, v15
	s_cbranch_execz .LBB6_32
.LBB6_79:
	v_ashrrev_i32_e32 v6, 31, v15
	v_mul_lo_u32 v7, v15, s23
	v_mad_u64_u32 v[4:5], null, v15, s22, 0
	s_mov_b32 s3, exec_lo
	s_delay_alu instid0(VALU_DEP_3) | instskip(NEXT) | instid1(VALU_DEP_1)
	v_mul_lo_u32 v6, v6, s22
	v_add3_u32 v5, v5, v7, v6
	v_lshlrev_b64 v[6:7], 3, v[10:11]
	s_delay_alu instid0(VALU_DEP_2) | instskip(NEXT) | instid1(VALU_DEP_2)
	v_lshlrev_b64 v[4:5], 3, v[4:5]
	v_add_co_u32 v15, vcc_lo, s20, v6
	s_delay_alu instid0(VALU_DEP_3) | instskip(NEXT) | instid1(VALU_DEP_3)
	v_add_co_ci_u32_e32 v16, vcc_lo, s21, v7, vcc_lo
	v_add_co_u32 v4, vcc_lo, v9, v4
	s_delay_alu instid0(VALU_DEP_4)
	v_add_co_ci_u32_e32 v5, vcc_lo, v17, v5, vcc_lo
	v_cmpx_gt_i32_e64 s18, v8
	s_cbranch_execz .LBB6_83
; %bb.80:
	s_delay_alu instid0(VALU_DEP_2)
	v_dual_mov_b32 v7, v5 :: v_dual_mov_b32 v6, v4
	s_and_not1_b32 vcc_lo, exec_lo, s1
	s_cbranch_vccnz .LBB6_82
; %bb.81:
	v_mad_u64_u32 v[6:7], null, v8, s22, 0
	s_delay_alu instid0(VALU_DEP_1) | instskip(NEXT) | instid1(VALU_DEP_1)
	v_mad_u64_u32 v[18:19], null, v8, s23, v[7:8]
	v_mov_b32_e32 v7, v18
	s_delay_alu instid0(VALU_DEP_1) | instskip(NEXT) | instid1(VALU_DEP_1)
	v_lshlrev_b64 v[6:7], 3, v[6:7]
	v_add_co_u32 v6, vcc_lo, v15, v6
	s_delay_alu instid0(VALU_DEP_2) | instskip(NEXT) | instid1(VALU_DEP_2)
	v_add_co_ci_u32_e32 v7, vcc_lo, v16, v7, vcc_lo
	v_add_co_u32 v6, vcc_lo, 0x400, v6
	s_delay_alu instid0(VALU_DEP_2)
	v_add_co_ci_u32_e32 v7, vcc_lo, 0, v7, vcc_lo
.LBB6_82:
	global_load_b64 v[6:7], v[6:7], off
	s_waitcnt vmcnt(0)
	v_cmp_neq_f64_e32 vcc_lo, 0, v[6:7]
	v_add_co_ci_u32_e32 v2, vcc_lo, 0, v2, vcc_lo
.LBB6_83:
	s_or_b32 exec_lo, exec_lo, s3
	v_or_b32_e32 v18, 1, v8
	s_mov_b32 s3, exec_lo
	s_delay_alu instid0(VALU_DEP_1)
	v_cmpx_gt_i32_e64 s18, v18
	s_cbranch_execz .LBB6_89
; %bb.84:
	s_and_not1_b32 vcc_lo, exec_lo, s0
	s_cbranch_vccnz .LBB6_86
; %bb.85:
	v_add_co_u32 v6, vcc_lo, v4, 8
	v_add_co_ci_u32_e32 v7, vcc_lo, 0, v5, vcc_lo
	s_cbranch_execz .LBB6_87
	s_branch .LBB6_88
.LBB6_86:
                                        ; implicit-def: $vgpr6_vgpr7
.LBB6_87:
	v_mad_u64_u32 v[6:7], null, v18, s22, 0
	s_delay_alu instid0(VALU_DEP_1) | instskip(NEXT) | instid1(VALU_DEP_1)
	v_mad_u64_u32 v[19:20], null, v18, s23, v[7:8]
	v_mov_b32_e32 v7, v19
	s_delay_alu instid0(VALU_DEP_1) | instskip(NEXT) | instid1(VALU_DEP_1)
	v_lshlrev_b64 v[6:7], 3, v[6:7]
	v_add_co_u32 v6, vcc_lo, v15, v6
	s_delay_alu instid0(VALU_DEP_2) | instskip(NEXT) | instid1(VALU_DEP_2)
	v_add_co_ci_u32_e32 v7, vcc_lo, v16, v7, vcc_lo
	v_add_co_u32 v6, vcc_lo, 0x400, v6
	s_delay_alu instid0(VALU_DEP_2)
	v_add_co_ci_u32_e32 v7, vcc_lo, 0, v7, vcc_lo
.LBB6_88:
	global_load_b64 v[6:7], v[6:7], off
	s_waitcnt vmcnt(0)
	v_cmp_neq_f64_e32 vcc_lo, 0, v[6:7]
	v_add_co_ci_u32_e32 v2, vcc_lo, 0, v2, vcc_lo
.LBB6_89:
	s_or_b32 exec_lo, exec_lo, s3
	v_or_b32_e32 v18, 2, v8
	s_mov_b32 s3, exec_lo
	s_delay_alu instid0(VALU_DEP_1)
	v_cmpx_gt_i32_e64 s18, v18
	s_cbranch_execz .LBB6_95
; %bb.90:
	s_and_not1_b32 vcc_lo, exec_lo, s0
	s_cbranch_vccnz .LBB6_92
; %bb.91:
	v_add_co_u32 v6, vcc_lo, v4, 16
	v_add_co_ci_u32_e32 v7, vcc_lo, 0, v5, vcc_lo
	s_cbranch_execz .LBB6_93
	s_branch .LBB6_94
.LBB6_92:
                                        ; implicit-def: $vgpr6_vgpr7
.LBB6_93:
	v_mad_u64_u32 v[6:7], null, v18, s22, 0
	s_delay_alu instid0(VALU_DEP_1) | instskip(NEXT) | instid1(VALU_DEP_1)
	v_mad_u64_u32 v[19:20], null, v18, s23, v[7:8]
	v_mov_b32_e32 v7, v19
	s_delay_alu instid0(VALU_DEP_1) | instskip(NEXT) | instid1(VALU_DEP_1)
	v_lshlrev_b64 v[6:7], 3, v[6:7]
	v_add_co_u32 v6, vcc_lo, v15, v6
	s_delay_alu instid0(VALU_DEP_2) | instskip(NEXT) | instid1(VALU_DEP_2)
	v_add_co_ci_u32_e32 v7, vcc_lo, v16, v7, vcc_lo
	v_add_co_u32 v6, vcc_lo, 0x400, v6
	s_delay_alu instid0(VALU_DEP_2)
	v_add_co_ci_u32_e32 v7, vcc_lo, 0, v7, vcc_lo
.LBB6_94:
	global_load_b64 v[6:7], v[6:7], off
	s_waitcnt vmcnt(0)
	v_cmp_neq_f64_e32 vcc_lo, 0, v[6:7]
	v_add_co_ci_u32_e32 v2, vcc_lo, 0, v2, vcc_lo
.LBB6_95:
	s_or_b32 exec_lo, exec_lo, s3
	v_or_b32_e32 v6, 3, v8
	s_mov_b32 s3, exec_lo
	s_delay_alu instid0(VALU_DEP_1)
	v_cmpx_gt_i32_e64 s18, v6
	s_cbranch_execz .LBB6_101
; %bb.96:
	s_and_not1_b32 vcc_lo, exec_lo, s0
	s_cbranch_vccnz .LBB6_98
; %bb.97:
	v_add_co_u32 v4, vcc_lo, v4, 24
	v_add_co_ci_u32_e32 v5, vcc_lo, 0, v5, vcc_lo
	s_cbranch_execz .LBB6_99
	s_branch .LBB6_100
.LBB6_98:
                                        ; implicit-def: $vgpr4_vgpr5
.LBB6_99:
	v_mad_u64_u32 v[4:5], null, v6, s22, 0
	s_delay_alu instid0(VALU_DEP_1) | instskip(NEXT) | instid1(VALU_DEP_1)
	v_mad_u64_u32 v[18:19], null, v6, s23, v[5:6]
	v_mov_b32_e32 v5, v18
	s_delay_alu instid0(VALU_DEP_1) | instskip(NEXT) | instid1(VALU_DEP_1)
	v_lshlrev_b64 v[4:5], 3, v[4:5]
	v_add_co_u32 v4, vcc_lo, v15, v4
	s_delay_alu instid0(VALU_DEP_2) | instskip(NEXT) | instid1(VALU_DEP_2)
	v_add_co_ci_u32_e32 v5, vcc_lo, v16, v5, vcc_lo
	v_add_co_u32 v4, vcc_lo, 0x400, v4
	s_delay_alu instid0(VALU_DEP_2)
	v_add_co_ci_u32_e32 v5, vcc_lo, 0, v5, vcc_lo
.LBB6_100:
	global_load_b64 v[4:5], v[4:5], off
	s_waitcnt vmcnt(0)
	v_cmp_neq_f64_e32 vcc_lo, 0, v[4:5]
	v_add_co_ci_u32_e32 v2, vcc_lo, 0, v2, vcc_lo
.LBB6_101:
	s_or_b32 exec_lo, exec_lo, s3
	s_delay_alu instid0(SALU_CYCLE_1) | instskip(NEXT) | instid1(SALU_CYCLE_1)
	s_or_b32 exec_lo, exec_lo, s2
	s_mov_b32 s2, exec_lo
	v_cmpx_gt_i32_e64 s17, v14
	s_cbranch_execz .LBB6_125
.LBB6_102:
	v_ashrrev_i32_e32 v6, 31, v14
	v_mul_lo_u32 v7, v14, s23
	v_mad_u64_u32 v[4:5], null, v14, s22, 0
	s_mov_b32 s3, exec_lo
	s_delay_alu instid0(VALU_DEP_3) | instskip(NEXT) | instid1(VALU_DEP_1)
	v_mul_lo_u32 v6, v6, s22
	v_add3_u32 v5, v5, v7, v6
	v_lshlrev_b64 v[6:7], 3, v[10:11]
	s_delay_alu instid0(VALU_DEP_2) | instskip(NEXT) | instid1(VALU_DEP_2)
	v_lshlrev_b64 v[4:5], 3, v[4:5]
	v_add_co_u32 v10, vcc_lo, s20, v6
	s_delay_alu instid0(VALU_DEP_3) | instskip(NEXT) | instid1(VALU_DEP_3)
	v_add_co_ci_u32_e32 v11, vcc_lo, s21, v7, vcc_lo
	v_add_co_u32 v4, vcc_lo, v9, v4
	s_delay_alu instid0(VALU_DEP_4)
	v_add_co_ci_u32_e32 v5, vcc_lo, v17, v5, vcc_lo
	v_cmpx_gt_i32_e64 s18, v8
	s_cbranch_execz .LBB6_106
; %bb.103:
	s_delay_alu instid0(VALU_DEP_2)
	v_dual_mov_b32 v7, v5 :: v_dual_mov_b32 v6, v4
	s_and_not1_b32 vcc_lo, exec_lo, s1
	s_cbranch_vccnz .LBB6_105
; %bb.104:
	v_mad_u64_u32 v[6:7], null, v8, s22, 0
	s_delay_alu instid0(VALU_DEP_1) | instskip(NEXT) | instid1(VALU_DEP_1)
	v_mad_u64_u32 v[14:15], null, v8, s23, v[7:8]
	v_mov_b32_e32 v7, v14
	s_delay_alu instid0(VALU_DEP_1) | instskip(NEXT) | instid1(VALU_DEP_1)
	v_lshlrev_b64 v[6:7], 3, v[6:7]
	v_add_co_u32 v6, vcc_lo, v10, v6
	s_delay_alu instid0(VALU_DEP_2) | instskip(NEXT) | instid1(VALU_DEP_2)
	v_add_co_ci_u32_e32 v7, vcc_lo, v11, v7, vcc_lo
	v_add_co_u32 v6, vcc_lo, 0x600, v6
	s_delay_alu instid0(VALU_DEP_2)
	v_add_co_ci_u32_e32 v7, vcc_lo, 0, v7, vcc_lo
.LBB6_105:
	global_load_b64 v[6:7], v[6:7], off
	s_waitcnt vmcnt(0)
	v_cmp_neq_f64_e32 vcc_lo, 0, v[6:7]
	v_add_co_ci_u32_e32 v3, vcc_lo, 0, v3, vcc_lo
.LBB6_106:
	s_or_b32 exec_lo, exec_lo, s3
	v_or_b32_e32 v14, 1, v8
	v_cndmask_b32_e64 v9, 0, 1, s0
	s_mov_b32 s1, exec_lo
	s_delay_alu instid0(VALU_DEP_2)
	v_cmpx_gt_i32_e64 s18, v14
	s_cbranch_execz .LBB6_112
; %bb.107:
	s_and_not1_b32 vcc_lo, exec_lo, s0
	s_cbranch_vccnz .LBB6_109
; %bb.108:
	v_add_co_u32 v6, vcc_lo, v4, 8
	v_add_co_ci_u32_e32 v7, vcc_lo, 0, v5, vcc_lo
	s_cbranch_execz .LBB6_110
	s_branch .LBB6_111
.LBB6_109:
                                        ; implicit-def: $vgpr6_vgpr7
.LBB6_110:
	v_mad_u64_u32 v[6:7], null, v14, s22, 0
	s_delay_alu instid0(VALU_DEP_1) | instskip(NEXT) | instid1(VALU_DEP_1)
	v_mad_u64_u32 v[15:16], null, v14, s23, v[7:8]
	v_mov_b32_e32 v7, v15
	s_delay_alu instid0(VALU_DEP_1) | instskip(NEXT) | instid1(VALU_DEP_1)
	v_lshlrev_b64 v[6:7], 3, v[6:7]
	v_add_co_u32 v6, vcc_lo, v10, v6
	s_delay_alu instid0(VALU_DEP_2) | instskip(NEXT) | instid1(VALU_DEP_2)
	v_add_co_ci_u32_e32 v7, vcc_lo, v11, v7, vcc_lo
	v_add_co_u32 v6, vcc_lo, 0x600, v6
	s_delay_alu instid0(VALU_DEP_2)
	v_add_co_ci_u32_e32 v7, vcc_lo, 0, v7, vcc_lo
.LBB6_111:
	global_load_b64 v[6:7], v[6:7], off
	s_waitcnt vmcnt(0)
	v_cmp_neq_f64_e32 vcc_lo, 0, v[6:7]
	v_add_co_ci_u32_e32 v3, vcc_lo, 0, v3, vcc_lo
.LBB6_112:
	s_or_b32 exec_lo, exec_lo, s1
	v_or_b32_e32 v14, 2, v8
	s_mov_b32 s0, exec_lo
	s_delay_alu instid0(VALU_DEP_1)
	v_cmpx_gt_i32_e64 s18, v14
	s_cbranch_execz .LBB6_118
; %bb.113:
	v_cmp_ne_u32_e32 vcc_lo, 1, v9
	s_cbranch_vccnz .LBB6_115
; %bb.114:
	v_add_co_u32 v6, vcc_lo, v4, 16
	v_add_co_ci_u32_e32 v7, vcc_lo, 0, v5, vcc_lo
	s_cbranch_execz .LBB6_116
	s_branch .LBB6_117
.LBB6_115:
                                        ; implicit-def: $vgpr6_vgpr7
.LBB6_116:
	v_mad_u64_u32 v[6:7], null, v14, s22, 0
	s_delay_alu instid0(VALU_DEP_1) | instskip(NEXT) | instid1(VALU_DEP_1)
	v_mad_u64_u32 v[15:16], null, v14, s23, v[7:8]
	v_mov_b32_e32 v7, v15
	s_delay_alu instid0(VALU_DEP_1) | instskip(NEXT) | instid1(VALU_DEP_1)
	v_lshlrev_b64 v[6:7], 3, v[6:7]
	v_add_co_u32 v6, vcc_lo, v10, v6
	s_delay_alu instid0(VALU_DEP_2) | instskip(NEXT) | instid1(VALU_DEP_2)
	v_add_co_ci_u32_e32 v7, vcc_lo, v11, v7, vcc_lo
	v_add_co_u32 v6, vcc_lo, 0x600, v6
	s_delay_alu instid0(VALU_DEP_2)
	v_add_co_ci_u32_e32 v7, vcc_lo, 0, v7, vcc_lo
.LBB6_117:
	global_load_b64 v[6:7], v[6:7], off
	s_waitcnt vmcnt(0)
	v_cmp_neq_f64_e32 vcc_lo, 0, v[6:7]
	v_add_co_ci_u32_e32 v3, vcc_lo, 0, v3, vcc_lo
.LBB6_118:
	s_or_b32 exec_lo, exec_lo, s0
	v_or_b32_e32 v6, 3, v8
	s_mov_b32 s0, exec_lo
	s_delay_alu instid0(VALU_DEP_1)
	v_cmpx_gt_i32_e64 s18, v6
	s_cbranch_execz .LBB6_124
; %bb.119:
	v_cmp_ne_u32_e32 vcc_lo, 1, v9
	s_cbranch_vccnz .LBB6_121
; %bb.120:
	v_add_co_u32 v4, vcc_lo, v4, 24
	v_add_co_ci_u32_e32 v5, vcc_lo, 0, v5, vcc_lo
	s_cbranch_execz .LBB6_122
	s_branch .LBB6_123
.LBB6_121:
                                        ; implicit-def: $vgpr4_vgpr5
.LBB6_122:
	v_mad_u64_u32 v[4:5], null, v6, s22, 0
	s_delay_alu instid0(VALU_DEP_1) | instskip(NEXT) | instid1(VALU_DEP_1)
	v_mad_u64_u32 v[7:8], null, v6, s23, v[5:6]
	v_mov_b32_e32 v5, v7
	s_delay_alu instid0(VALU_DEP_1) | instskip(NEXT) | instid1(VALU_DEP_1)
	v_lshlrev_b64 v[4:5], 3, v[4:5]
	v_add_co_u32 v4, vcc_lo, v10, v4
	s_delay_alu instid0(VALU_DEP_2) | instskip(NEXT) | instid1(VALU_DEP_2)
	v_add_co_ci_u32_e32 v5, vcc_lo, v11, v5, vcc_lo
	v_add_co_u32 v4, vcc_lo, 0x600, v4
	s_delay_alu instid0(VALU_DEP_2)
	v_add_co_ci_u32_e32 v5, vcc_lo, 0, v5, vcc_lo
.LBB6_123:
	global_load_b64 v[4:5], v[4:5], off
	s_waitcnt vmcnt(0)
	v_cmp_neq_f64_e32 vcc_lo, 0, v[4:5]
	v_add_co_ci_u32_e32 v3, vcc_lo, 0, v3, vcc_lo
.LBB6_124:
	s_or_b32 exec_lo, exec_lo, s0
.LBB6_125:
	s_delay_alu instid0(SALU_CYCLE_1)
	s_or_b32 exec_lo, exec_lo, s2
.LBB6_126:
	v_lshlrev_b32_e32 v4, 2, v12
	s_mov_b32 s0, exec_lo
	s_delay_alu instid0(VALU_DEP_1) | instskip(NEXT) | instid1(VALU_DEP_1)
	v_and_or_b32 v5, 0x1fffff00, v4, v13
	v_lshlrev_b32_e32 v5, 2, v5
	ds_store_2addr_stride64_b32 v5, v0, v1 offset1:1
	ds_store_2addr_stride64_b32 v5, v2, v3 offset0:2 offset1:3
	s_waitcnt lgkmcnt(0)
	s_barrier
	buffer_gl0_inv
	v_cmpx_gt_u32_e32 0x100, v12
	s_cbranch_execz .LBB6_129
; %bb.127:
	ds_load_2addr_stride64_b32 v[0:1], v4 offset1:4
	ds_load_2addr_stride64_b32 v[2:3], v4 offset0:8 offset1:12
	ds_load_2addr_stride64_b32 v[5:6], v4 offset0:16 offset1:20
	;; [unrolled: 1-line block ×3, first 2 shown]
	s_waitcnt lgkmcnt(3)
	v_add_nc_u32_e32 v9, v0, v1
	ds_load_2addr_stride64_b32 v[0:1], v4 offset0:32 offset1:36
	s_waitcnt lgkmcnt(3)
	v_add3_u32 v9, v9, v2, v3
	ds_load_2addr_stride64_b32 v[2:3], v4 offset0:40 offset1:44
	s_waitcnt lgkmcnt(3)
	v_add3_u32 v9, v9, v5, v6
	;; [unrolled: 3-line block ×4, first 2 shown]
	s_waitcnt lgkmcnt(2)
	s_delay_alu instid0(VALU_DEP_1) | instskip(SKIP_1) | instid1(VALU_DEP_1)
	v_add3_u32 v0, v0, v2, v3
	s_waitcnt lgkmcnt(1)
	v_add3_u32 v1, v0, v5, v6
	v_add_nc_u32_e32 v0, s5, v12
	s_waitcnt lgkmcnt(0)
	s_delay_alu instid0(VALU_DEP_2) | instskip(NEXT) | instid1(VALU_DEP_2)
	v_add3_u32 v2, v1, v7, v8
	v_cmp_gt_i32_e32 vcc_lo, s17, v0
	ds_store_b32 v4, v2
	s_and_b32 exec_lo, exec_lo, vcc_lo
	s_cbranch_execz .LBB6_129
; %bb.128:
	v_ashrrev_i32_e32 v1, 31, v0
	s_delay_alu instid0(VALU_DEP_1) | instskip(NEXT) | instid1(VALU_DEP_1)
	v_lshlrev_b64 v[0:1], 2, v[0:1]
	v_add_co_u32 v0, vcc_lo, s6, v0
	s_delay_alu instid0(VALU_DEP_2)
	v_add_co_ci_u32_e32 v1, vcc_lo, s7, v1, vcc_lo
	global_store_b32 v[0:1], v2, off
.LBB6_129:
	s_nop 0
	s_sendmsg sendmsg(MSG_DEALLOC_VGPRS)
	s_endpgm
	.section	.rodata,"a",@progbits
	.p2align	6, 0x0
	.amdhsa_kernel _ZN9rocsparseL14nnz_kernel_rowILi64ELi16EiidEEv16rocsparse_order_T2_S2_PKT3_lPT1_
		.amdhsa_group_segment_fixed_size 16384
		.amdhsa_private_segment_fixed_size 0
		.amdhsa_kernarg_size 296
		.amdhsa_user_sgpr_count 15
		.amdhsa_user_sgpr_dispatch_ptr 0
		.amdhsa_user_sgpr_queue_ptr 0
		.amdhsa_user_sgpr_kernarg_segment_ptr 1
		.amdhsa_user_sgpr_dispatch_id 0
		.amdhsa_user_sgpr_private_segment_size 0
		.amdhsa_wavefront_size32 1
		.amdhsa_uses_dynamic_stack 0
		.amdhsa_enable_private_segment 0
		.amdhsa_system_sgpr_workgroup_id_x 1
		.amdhsa_system_sgpr_workgroup_id_y 0
		.amdhsa_system_sgpr_workgroup_id_z 0
		.amdhsa_system_sgpr_workgroup_info 0
		.amdhsa_system_vgpr_workitem_id 1
		.amdhsa_next_free_vgpr 36
		.amdhsa_next_free_sgpr 24
		.amdhsa_reserve_vcc 1
		.amdhsa_float_round_mode_32 0
		.amdhsa_float_round_mode_16_64 0
		.amdhsa_float_denorm_mode_32 3
		.amdhsa_float_denorm_mode_16_64 3
		.amdhsa_dx10_clamp 1
		.amdhsa_ieee_mode 1
		.amdhsa_fp16_overflow 0
		.amdhsa_workgroup_processor_mode 1
		.amdhsa_memory_ordered 1
		.amdhsa_forward_progress 0
		.amdhsa_shared_vgpr_count 0
		.amdhsa_exception_fp_ieee_invalid_op 0
		.amdhsa_exception_fp_denorm_src 0
		.amdhsa_exception_fp_ieee_div_zero 0
		.amdhsa_exception_fp_ieee_overflow 0
		.amdhsa_exception_fp_ieee_underflow 0
		.amdhsa_exception_fp_ieee_inexact 0
		.amdhsa_exception_int_div_zero 0
	.end_amdhsa_kernel
	.section	.text._ZN9rocsparseL14nnz_kernel_rowILi64ELi16EiidEEv16rocsparse_order_T2_S2_PKT3_lPT1_,"axG",@progbits,_ZN9rocsparseL14nnz_kernel_rowILi64ELi16EiidEEv16rocsparse_order_T2_S2_PKT3_lPT1_,comdat
.Lfunc_end6:
	.size	_ZN9rocsparseL14nnz_kernel_rowILi64ELi16EiidEEv16rocsparse_order_T2_S2_PKT3_lPT1_, .Lfunc_end6-_ZN9rocsparseL14nnz_kernel_rowILi64ELi16EiidEEv16rocsparse_order_T2_S2_PKT3_lPT1_
                                        ; -- End function
	.section	.AMDGPU.csdata,"",@progbits
; Kernel info:
; codeLenInByte = 5424
; NumSgprs: 26
; NumVgprs: 36
; ScratchSize: 0
; MemoryBound: 0
; FloatMode: 240
; IeeeMode: 1
; LDSByteSize: 16384 bytes/workgroup (compile time only)
; SGPRBlocks: 3
; VGPRBlocks: 4
; NumSGPRsForWavesPerEU: 26
; NumVGPRsForWavesPerEU: 36
; Occupancy: 16
; WaveLimiterHint : 0
; COMPUTE_PGM_RSRC2:SCRATCH_EN: 0
; COMPUTE_PGM_RSRC2:USER_SGPR: 15
; COMPUTE_PGM_RSRC2:TRAP_HANDLER: 0
; COMPUTE_PGM_RSRC2:TGID_X_EN: 1
; COMPUTE_PGM_RSRC2:TGID_Y_EN: 0
; COMPUTE_PGM_RSRC2:TGID_Z_EN: 0
; COMPUTE_PGM_RSRC2:TIDIG_COMP_CNT: 1
	.section	.text._ZN9rocsparseL14nnz_kernel_colILi256EiidEEv16rocsparse_order_T1_S2_PKT2_lPT0_,"axG",@progbits,_ZN9rocsparseL14nnz_kernel_colILi256EiidEEv16rocsparse_order_T1_S2_PKT2_lPT0_,comdat
	.globl	_ZN9rocsparseL14nnz_kernel_colILi256EiidEEv16rocsparse_order_T1_S2_PKT2_lPT0_ ; -- Begin function _ZN9rocsparseL14nnz_kernel_colILi256EiidEEv16rocsparse_order_T1_S2_PKT2_lPT0_
	.p2align	8
	.type	_ZN9rocsparseL14nnz_kernel_colILi256EiidEEv16rocsparse_order_T1_S2_PKT2_lPT0_,@function
_ZN9rocsparseL14nnz_kernel_colILi256EiidEEv16rocsparse_order_T1_S2_PKT2_lPT0_: ; @_ZN9rocsparseL14nnz_kernel_colILi256EiidEEv16rocsparse_order_T1_S2_PKT2_lPT0_
; %bb.0:
	s_clause 0x1
	s_load_b64 s[8:9], s[0:1], 0x0
	s_load_b128 s[4:7], s[0:1], 0x10
	s_mov_b32 s2, s15
	s_waitcnt lgkmcnt(0)
	s_ashr_i32 s3, s9, 31
	s_delay_alu instid0(SALU_CYCLE_1) | instskip(NEXT) | instid1(SALU_CYCLE_1)
	s_lshr_b32 s3, s3, 24
	s_add_i32 s3, s9, s3
	s_delay_alu instid0(SALU_CYCLE_1)
	s_and_b32 s10, s3, 0xffffff00
	s_cmp_eq_u32 s8, 1
	s_cbranch_scc1 .LBB7_6
; %bb.1:
	v_mov_b32_e32 v5, 0
	s_cmpk_lt_i32 s9, 0x100
	s_cbranch_scc1 .LBB7_7
; %bb.2:
	v_mad_u64_u32 v[1:2], null, s6, v0, 0
	s_ashr_i32 s3, s2, 31
	v_mov_b32_e32 v5, 0
	s_lshl_b64 s[12:13], s[2:3], 3
	s_delay_alu instid0(SALU_CYCLE_1) | instskip(SKIP_1) | instid1(VALU_DEP_2)
	s_add_u32 s3, s4, s12
	s_addc_u32 s8, s5, s13
	v_mad_u64_u32 v[3:4], null, s7, v0, v[2:3]
	s_lshl_b64 s[12:13], s[6:7], 11
	s_delay_alu instid0(VALU_DEP_1) | instskip(NEXT) | instid1(VALU_DEP_1)
	v_mov_b32_e32 v2, v3
	v_lshlrev_b64 v[1:2], 3, v[1:2]
	s_delay_alu instid0(VALU_DEP_1) | instskip(NEXT) | instid1(VALU_DEP_2)
	v_add_co_u32 v1, vcc_lo, s3, v1
	v_add_co_ci_u32_e32 v2, vcc_lo, s8, v2, vcc_lo
	s_mov_b32 s3, 0
	s_branch .LBB7_4
	.p2align	6
.LBB7_3:                                ;   in Loop: Header=BB7_4 Depth=1
	s_or_b32 exec_lo, exec_lo, s8
	v_add_co_u32 v1, vcc_lo, v1, s12
	v_add_co_ci_u32_e32 v2, vcc_lo, s13, v2, vcc_lo
	s_addk_i32 s3, 0x100
	s_delay_alu instid0(SALU_CYCLE_1)
	s_cmp_ge_i32 s3, s10
	s_cbranch_scc1 .LBB7_7
.LBB7_4:                                ; =>This Inner Loop Header: Depth=1
	v_add_nc_u32_e32 v3, s3, v0
	s_mov_b32 s8, exec_lo
	s_delay_alu instid0(VALU_DEP_1)
	v_cmpx_gt_i32_e64 s9, v3
	s_cbranch_execz .LBB7_3
; %bb.5:                                ;   in Loop: Header=BB7_4 Depth=1
	global_load_b64 v[3:4], v[1:2], off
	s_waitcnt vmcnt(0)
	v_cmp_neq_f64_e32 vcc_lo, 0, v[3:4]
	v_add_co_ci_u32_e32 v5, vcc_lo, 0, v5, vcc_lo
	s_branch .LBB7_3
.LBB7_6:
	s_mov_b32 s8, 0
                                        ; implicit-def: $vgpr5
                                        ; implicit-def: $vgpr1_vgpr2
	s_cbranch_execnz .LBB7_10
	s_branch .LBB7_16
.LBB7_7:
	v_add_nc_u32_e32 v3, s10, v0
	s_mov_b32 s11, 0
	s_mov_b32 s8, 0
                                        ; implicit-def: $vgpr1_vgpr2
	s_mov_b32 s3, exec_lo
	s_delay_alu instid0(VALU_DEP_1)
	v_cmpx_gt_i32_e64 s9, v3
	s_xor_b32 s12, exec_lo, s3
	s_cbranch_execz .LBB7_9
; %bb.8:
	v_ashrrev_i32_e32 v4, 31, v3
	v_mul_lo_u32 v6, v3, s7
	v_mad_u64_u32 v[1:2], null, v3, s6, 0
	s_ashr_i32 s3, s2, 31
	s_delay_alu instid0(VALU_DEP_3) | instskip(SKIP_4) | instid1(VALU_DEP_1)
	v_mul_lo_u32 v3, v4, s6
	s_lshl_b64 s[14:15], s[2:3], 3
	s_mov_b32 s8, exec_lo
	s_add_u32 s3, s14, s4
	s_addc_u32 s13, s15, s5
	v_add3_u32 v2, v2, v6, v3
	s_delay_alu instid0(VALU_DEP_1) | instskip(NEXT) | instid1(VALU_DEP_1)
	v_lshlrev_b64 v[1:2], 3, v[1:2]
	v_add_co_u32 v1, vcc_lo, s3, v1
	s_delay_alu instid0(VALU_DEP_2)
	v_add_co_ci_u32_e32 v2, vcc_lo, s13, v2, vcc_lo
.LBB7_9:
	s_or_b32 exec_lo, exec_lo, s12
	s_delay_alu instid0(SALU_CYCLE_1)
	s_and_b32 vcc_lo, exec_lo, s11
	s_cbranch_vccz .LBB7_16
.LBB7_10:
	v_cmp_gt_i32_e32 vcc_lo, s9, v0
	s_mul_i32 s3, s2, s7
	s_mul_hi_u32 s7, s2, s6
	s_ashr_i32 s11, s2, 31
	s_add_i32 s3, s7, s3
	v_cndmask_b32_e32 v1, 0, v0, vcc_lo
	s_mul_i32 s11, s11, s6
	s_mul_i32 s6, s2, s6
	s_add_i32 s7, s3, s11
	v_mov_b32_e32 v5, 0
	v_lshlrev_b32_e32 v1, 3, v1
	s_lshl_b64 s[6:7], s[6:7], 3
	s_delay_alu instid0(SALU_CYCLE_1) | instskip(SKIP_1) | instid1(VALU_DEP_1)
	s_add_u32 s3, s4, s6
	s_addc_u32 s4, s5, s7
	v_add_co_u32 v3, s3, s3, v1
	s_delay_alu instid0(VALU_DEP_1)
	v_add_co_ci_u32_e64 v4, null, s4, 0, s3
	s_cmpk_lt_i32 s9, 0x100
	s_mov_b32 s3, 0
	s_cbranch_scc1 .LBB7_13
; %bb.11:
	v_mov_b32_e32 v1, v3
	v_dual_mov_b32 v5, 0 :: v_dual_mov_b32 v2, v4
.LBB7_12:                               ; =>This Inner Loop Header: Depth=1
	global_load_b64 v[6:7], v[1:2], off
	v_add_co_u32 v1, vcc_lo, 0x800, v1
	v_add_co_ci_u32_e32 v2, vcc_lo, 0, v2, vcc_lo
	s_addk_i32 s3, 0x100
	s_delay_alu instid0(SALU_CYCLE_1)
	s_cmp_ge_i32 s3, s10
	s_waitcnt vmcnt(0)
	v_cmp_neq_f64_e32 vcc_lo, 0, v[6:7]
	v_add_co_ci_u32_e32 v5, vcc_lo, 0, v5, vcc_lo
	s_cbranch_scc0 .LBB7_12
.LBB7_13:
	v_add_nc_u32_e32 v1, s10, v0
	s_delay_alu instid0(VALU_DEP_1)
	v_cmp_gt_i32_e32 vcc_lo, s9, v1
                                        ; implicit-def: $vgpr1_vgpr2
	s_and_saveexec_b32 s3, vcc_lo
; %bb.14:
	s_ashr_i32 s11, s10, 31
	s_or_b32 s8, s8, exec_lo
	s_lshl_b64 s[4:5], s[10:11], 3
	s_delay_alu instid0(SALU_CYCLE_1)
	v_add_co_u32 v1, vcc_lo, v3, s4
	v_add_co_ci_u32_e32 v2, vcc_lo, s5, v4, vcc_lo
; %bb.15:
	s_or_b32 exec_lo, exec_lo, s3
.LBB7_16:
	s_and_saveexec_b32 s3, s8
	s_cbranch_execz .LBB7_18
; %bb.17:
	global_load_b64 v[1:2], v[1:2], off
	s_waitcnt vmcnt(0)
	v_cmp_neq_f64_e32 vcc_lo, 0, v[1:2]
	v_add_co_ci_u32_e32 v5, vcc_lo, 0, v5, vcc_lo
.LBB7_18:
	s_or_b32 exec_lo, exec_lo, s3
	v_lshlrev_b32_e32 v1, 2, v0
	v_cmp_eq_u32_e32 vcc_lo, 0, v0
	s_cmpk_lt_i32 s9, 0x100
	s_mov_b32 s3, -1
	ds_store_b32 v1, v5
	s_waitcnt lgkmcnt(0)
	s_cbranch_scc0 .LBB7_29
; %bb.19:
	s_cmp_gt_i32 s9, 1
	s_mov_b32 s5, 1
	s_cselect_b32 s3, -1, 0
	s_barrier
	s_and_b32 s4, vcc_lo, s3
	buffer_gl0_inv
	s_and_saveexec_b32 s3, s4
	s_cbranch_execz .LBB7_28
; %bb.20:
	v_mov_b32_e32 v2, 0
	s_add_i32 s6, s9, -2
	s_add_i32 s4, s9, -1
	s_cmp_lt_u32 s6, 7
	ds_load_b32 v2, v2
	s_cbranch_scc1 .LBB7_24
; %bb.21:
	s_and_b32 s5, s4, -8
	s_mov_b32 s7, 0
	s_mov_b32 s6, 4
	.p2align	6
.LBB7_22:                               ; =>This Inner Loop Header: Depth=1
	s_delay_alu instid0(SALU_CYCLE_1)
	v_mov_b32_e32 v9, s6
	s_mov_b32 s8, s7
	s_add_i32 s7, s7, 8
	s_add_i32 s6, s6, 32
	s_cmp_lg_u32 s5, s7
	ds_load_2addr_b32 v[3:4], v9 offset1:1
	ds_load_2addr_b32 v[5:6], v9 offset0:2 offset1:3
	ds_load_2addr_b32 v[7:8], v9 offset0:4 offset1:5
	;; [unrolled: 1-line block ×3, first 2 shown]
	s_waitcnt lgkmcnt(3)
	v_add_nc_u32_e32 v2, v2, v3
	s_delay_alu instid0(VALU_DEP_1) | instskip(SKIP_1) | instid1(VALU_DEP_1)
	v_add_nc_u32_e32 v2, v2, v4
	s_waitcnt lgkmcnt(2)
	v_add_nc_u32_e32 v2, v2, v5
	s_delay_alu instid0(VALU_DEP_1) | instskip(SKIP_1) | instid1(VALU_DEP_1)
	v_add_nc_u32_e32 v2, v2, v6
	;; [unrolled: 4-line block ×3, first 2 shown]
	s_waitcnt lgkmcnt(0)
	v_add_nc_u32_e32 v2, v2, v9
	s_delay_alu instid0(VALU_DEP_1)
	v_add_nc_u32_e32 v2, v2, v10
	s_cbranch_scc1 .LBB7_22
; %bb.23:
	s_add_i32 s5, s8, 9
.LBB7_24:
	s_and_b32 s4, s4, 7
	s_delay_alu instid0(SALU_CYCLE_1)
	s_cmp_eq_u32 s4, 0
	s_cbranch_scc1 .LBB7_27
; %bb.25:
	s_lshl_b32 s5, s5, 2
.LBB7_26:                               ; =>This Inner Loop Header: Depth=1
	s_delay_alu instid0(SALU_CYCLE_1)
	v_mov_b32_e32 v3, s5
	s_add_i32 s4, s4, -1
	s_add_i32 s5, s5, 4
	s_cmp_lg_u32 s4, 0
	ds_load_b32 v3, v3
	s_waitcnt lgkmcnt(0)
	v_add_nc_u32_e32 v2, v2, v3
	s_cbranch_scc1 .LBB7_26
.LBB7_27:
	v_mov_b32_e32 v3, 0
	s_waitcnt lgkmcnt(0)
	ds_store_b32 v3, v2
.LBB7_28:
	s_or_b32 exec_lo, exec_lo, s3
	s_mov_b32 s3, 0
	s_waitcnt lgkmcnt(0)
	s_barrier
.LBB7_29:
	s_and_b32 vcc_lo, exec_lo, s3
	s_cbranch_vccz .LBB7_47
; %bb.30:
	s_mov_b32 s3, exec_lo
	s_barrier
	buffer_gl0_inv
	v_cmpx_gt_u32_e32 0x80, v0
	s_cbranch_execz .LBB7_32
; %bb.31:
	ds_load_2addr_stride64_b32 v[2:3], v1 offset1:2
	s_waitcnt lgkmcnt(0)
	v_add_nc_u32_e32 v2, v2, v3
	ds_store_b32 v1, v2
.LBB7_32:
	s_or_b32 exec_lo, exec_lo, s3
	s_delay_alu instid0(SALU_CYCLE_1)
	s_mov_b32 s3, exec_lo
	s_waitcnt lgkmcnt(0)
	s_barrier
	buffer_gl0_inv
	v_cmpx_gt_u32_e32 64, v0
	s_cbranch_execz .LBB7_34
; %bb.33:
	ds_load_2addr_stride64_b32 v[2:3], v1 offset1:1
	s_waitcnt lgkmcnt(0)
	v_add_nc_u32_e32 v2, v2, v3
	ds_store_b32 v1, v2
.LBB7_34:
	s_or_b32 exec_lo, exec_lo, s3
	s_delay_alu instid0(SALU_CYCLE_1)
	s_mov_b32 s3, exec_lo
	s_waitcnt lgkmcnt(0)
	s_barrier
	buffer_gl0_inv
	v_cmpx_gt_u32_e32 32, v0
	s_cbranch_execz .LBB7_36
; %bb.35:
	ds_load_2addr_b32 v[2:3], v1 offset1:32
	s_waitcnt lgkmcnt(0)
	v_add_nc_u32_e32 v2, v2, v3
	ds_store_b32 v1, v2
.LBB7_36:
	s_or_b32 exec_lo, exec_lo, s3
	s_delay_alu instid0(SALU_CYCLE_1)
	s_mov_b32 s3, exec_lo
	s_waitcnt lgkmcnt(0)
	s_barrier
	buffer_gl0_inv
	v_cmpx_gt_u32_e32 16, v0
	s_cbranch_execz .LBB7_38
; %bb.37:
	ds_load_2addr_b32 v[2:3], v1 offset1:16
	s_waitcnt lgkmcnt(0)
	v_add_nc_u32_e32 v2, v2, v3
	ds_store_b32 v1, v2
.LBB7_38:
	;; [unrolled: 14-line block ×5, first 2 shown]
	s_or_b32 exec_lo, exec_lo, s3
	s_delay_alu instid0(SALU_CYCLE_1)
	s_mov_b32 s3, exec_lo
	s_waitcnt lgkmcnt(0)
	s_barrier
	buffer_gl0_inv
	v_cmpx_eq_u32_e32 0, v0
	s_cbranch_execz .LBB7_46
; %bb.45:
	v_mov_b32_e32 v3, 0
	ds_load_b64 v[1:2], v3
	s_waitcnt lgkmcnt(0)
	v_add_nc_u32_e32 v1, v1, v2
	ds_store_b32 v3, v1
.LBB7_46:
	s_or_b32 exec_lo, exec_lo, s3
	s_waitcnt lgkmcnt(0)
	s_barrier
.LBB7_47:
	buffer_gl0_inv
	s_mov_b32 s3, exec_lo
	v_cmpx_eq_u32_e32 0, v0
	s_cbranch_execz .LBB7_49
; %bb.48:
	v_mov_b32_e32 v0, 0
	s_load_b64 s[0:1], s[0:1], 0x20
	s_ashr_i32 s3, s2, 31
	s_delay_alu instid0(SALU_CYCLE_1)
	s_lshl_b64 s[2:3], s[2:3], 2
	ds_load_b32 v1, v0
	s_waitcnt lgkmcnt(0)
	s_add_u32 s0, s0, s2
	s_addc_u32 s1, s1, s3
	global_store_b32 v0, v1, s[0:1]
.LBB7_49:
	s_nop 0
	s_sendmsg sendmsg(MSG_DEALLOC_VGPRS)
	s_endpgm
	.section	.rodata,"a",@progbits
	.p2align	6, 0x0
	.amdhsa_kernel _ZN9rocsparseL14nnz_kernel_colILi256EiidEEv16rocsparse_order_T1_S2_PKT2_lPT0_
		.amdhsa_group_segment_fixed_size 1024
		.amdhsa_private_segment_fixed_size 0
		.amdhsa_kernarg_size 40
		.amdhsa_user_sgpr_count 15
		.amdhsa_user_sgpr_dispatch_ptr 0
		.amdhsa_user_sgpr_queue_ptr 0
		.amdhsa_user_sgpr_kernarg_segment_ptr 1
		.amdhsa_user_sgpr_dispatch_id 0
		.amdhsa_user_sgpr_private_segment_size 0
		.amdhsa_wavefront_size32 1
		.amdhsa_uses_dynamic_stack 0
		.amdhsa_enable_private_segment 0
		.amdhsa_system_sgpr_workgroup_id_x 1
		.amdhsa_system_sgpr_workgroup_id_y 0
		.amdhsa_system_sgpr_workgroup_id_z 0
		.amdhsa_system_sgpr_workgroup_info 0
		.amdhsa_system_vgpr_workitem_id 0
		.amdhsa_next_free_vgpr 11
		.amdhsa_next_free_sgpr 16
		.amdhsa_reserve_vcc 1
		.amdhsa_float_round_mode_32 0
		.amdhsa_float_round_mode_16_64 0
		.amdhsa_float_denorm_mode_32 3
		.amdhsa_float_denorm_mode_16_64 3
		.amdhsa_dx10_clamp 1
		.amdhsa_ieee_mode 1
		.amdhsa_fp16_overflow 0
		.amdhsa_workgroup_processor_mode 1
		.amdhsa_memory_ordered 1
		.amdhsa_forward_progress 0
		.amdhsa_shared_vgpr_count 0
		.amdhsa_exception_fp_ieee_invalid_op 0
		.amdhsa_exception_fp_denorm_src 0
		.amdhsa_exception_fp_ieee_div_zero 0
		.amdhsa_exception_fp_ieee_overflow 0
		.amdhsa_exception_fp_ieee_underflow 0
		.amdhsa_exception_fp_ieee_inexact 0
		.amdhsa_exception_int_div_zero 0
	.end_amdhsa_kernel
	.section	.text._ZN9rocsparseL14nnz_kernel_colILi256EiidEEv16rocsparse_order_T1_S2_PKT2_lPT0_,"axG",@progbits,_ZN9rocsparseL14nnz_kernel_colILi256EiidEEv16rocsparse_order_T1_S2_PKT2_lPT0_,comdat
.Lfunc_end7:
	.size	_ZN9rocsparseL14nnz_kernel_colILi256EiidEEv16rocsparse_order_T1_S2_PKT2_lPT0_, .Lfunc_end7-_ZN9rocsparseL14nnz_kernel_colILi256EiidEEv16rocsparse_order_T1_S2_PKT2_lPT0_
                                        ; -- End function
	.section	.AMDGPU.csdata,"",@progbits
; Kernel info:
; codeLenInByte = 1536
; NumSgprs: 18
; NumVgprs: 11
; ScratchSize: 0
; MemoryBound: 0
; FloatMode: 240
; IeeeMode: 1
; LDSByteSize: 1024 bytes/workgroup (compile time only)
; SGPRBlocks: 2
; VGPRBlocks: 1
; NumSGPRsForWavesPerEU: 18
; NumVGPRsForWavesPerEU: 11
; Occupancy: 16
; WaveLimiterHint : 0
; COMPUTE_PGM_RSRC2:SCRATCH_EN: 0
; COMPUTE_PGM_RSRC2:USER_SGPR: 15
; COMPUTE_PGM_RSRC2:TRAP_HANDLER: 0
; COMPUTE_PGM_RSRC2:TGID_X_EN: 1
; COMPUTE_PGM_RSRC2:TGID_Y_EN: 0
; COMPUTE_PGM_RSRC2:TGID_Z_EN: 0
; COMPUTE_PGM_RSRC2:TIDIG_COMP_CNT: 0
	.section	.text._ZN9rocsparseL14nnz_kernel_rowILi64ELi16Eii21rocsparse_complex_numIfEEEv16rocsparse_order_T2_S4_PKT3_lPT1_,"axG",@progbits,_ZN9rocsparseL14nnz_kernel_rowILi64ELi16Eii21rocsparse_complex_numIfEEEv16rocsparse_order_T2_S4_PKT3_lPT1_,comdat
	.globl	_ZN9rocsparseL14nnz_kernel_rowILi64ELi16Eii21rocsparse_complex_numIfEEEv16rocsparse_order_T2_S4_PKT3_lPT1_ ; -- Begin function _ZN9rocsparseL14nnz_kernel_rowILi64ELi16Eii21rocsparse_complex_numIfEEEv16rocsparse_order_T2_S4_PKT3_lPT1_
	.p2align	8
	.type	_ZN9rocsparseL14nnz_kernel_rowILi64ELi16Eii21rocsparse_complex_numIfEEEv16rocsparse_order_T2_S4_PKT3_lPT1_,@function
_ZN9rocsparseL14nnz_kernel_rowILi64ELi16Eii21rocsparse_complex_numIfEEEv16rocsparse_order_T2_S4_PKT3_lPT1_: ; @_ZN9rocsparseL14nnz_kernel_rowILi64ELi16Eii21rocsparse_complex_numIfEEEv16rocsparse_order_T2_S4_PKT3_lPT1_
; %bb.0:
	s_clause 0x1
	s_load_b32 s2, s[0:1], 0x34
	s_load_b256 s[16:23], s[0:1], 0x0
	s_mov_b32 s8, 0
	s_load_b64 s[6:7], s[0:1], 0x20
	s_mov_b32 s9, s8
	s_mov_b32 s10, s8
	;; [unrolled: 1-line block ×3, first 2 shown]
	v_and_b32_e32 v1, 0x3ff, v0
	v_bfe_u32 v0, v0, 10, 10
	s_lshl_b32 s5, s15, 8
	s_mov_b32 s13, exec_lo
	s_waitcnt lgkmcnt(0)
	s_and_b32 s2, s2, 0xffff
	s_ashr_i32 s0, s18, 31
	v_mad_u32_u24 v14, v0, s2, v1
	s_lshr_b32 s0, s0, 26
	s_delay_alu instid0(SALU_CYCLE_1) | instskip(NEXT) | instid1(VALU_DEP_1)
	s_add_i32 s12, s18, s0
	v_lshrrev_b32_e32 v0, 4, v14
	v_and_b32_e32 v15, 63, v14
	s_and_not1_b32 s12, s12, 63
	s_delay_alu instid0(VALU_DEP_2) | instskip(SKIP_1) | instid1(VALU_DEP_3)
	v_and_b32_e32 v8, 0x7ffffc, v0
	v_dual_mov_b32 v0, s8 :: v_dual_mov_b32 v1, s9
	v_or_b32_e32 v10, s5, v15
	v_dual_mov_b32 v2, s10 :: v_dual_mov_b32 v3, s11
	s_delay_alu instid0(VALU_DEP_2)
	v_or_b32_e32 v18, 64, v10
	v_or_b32_e32 v17, 0x80, v10
	;; [unrolled: 1-line block ×3, first 2 shown]
	v_cmpx_gt_i32_e64 s12, v8
	s_cbranch_execz .LBB8_28
; %bb.1:
	v_lshrrev_b32_e32 v27, 6, v14
	v_cmp_gt_i32_e64 s0, s17, v10
	v_cmp_gt_i32_e64 s1, s17, v18
	;; [unrolled: 1-line block ×4, first 2 shown]
	v_lshlrev_b32_e32 v28, 2, v27
	s_cmp_lg_u32 s16, 1
	s_delay_alu instid0(VALU_DEP_1) | instskip(SKIP_1) | instid1(VALU_DEP_2)
	v_or_b32_e32 v9, 3, v28
	v_or_b32_e32 v31, 2, v28
	v_mad_u64_u32 v[4:5], null, s22, v9, 0
	v_add_nc_u32_e32 v0, s5, v15
	s_delay_alu instid0(VALU_DEP_3) | instskip(NEXT) | instid1(VALU_DEP_2)
	v_mad_u64_u32 v[21:22], null, s22, v31, 0
	v_ashrrev_i32_e32 v1, 31, v0
	s_delay_alu instid0(VALU_DEP_1)
	v_mul_lo_u32 v24, s22, v1
	v_lshlrev_b64 v[6:7], 3, v[0:1]
	v_mov_b32_e32 v1, v5
	v_mul_lo_u32 v13, s23, v0
	v_mad_u64_u32 v[2:3], null, s22, v0, 0
	v_add_nc_u32_e32 v23, 64, v0
	s_delay_alu instid0(VALU_DEP_1) | instskip(NEXT) | instid1(VALU_DEP_3)
	v_ashrrev_i32_e32 v25, 31, v23
	v_add3_u32 v3, v3, v24, v13
	v_mul_lo_u32 v26, s23, v23
	v_mad_u64_u32 v[11:12], null, s23, v9, v[1:2]
	v_mad_u64_u32 v[19:20], null, s22, v23, 0
	v_mul_lo_u32 v9, s22, v25
	v_lshlrev_b64 v[2:3], 3, v[2:3]
	v_dual_mov_b32 v1, v22 :: v_dual_add_nc_u32 v30, 0x80, v0
	v_mov_b32_e32 v5, v11
	v_mad_u64_u32 v[23:24], null, s22, v28, s[22:23]
	v_add3_u32 v20, v20, v9, v26
	s_delay_alu instid0(VALU_DEP_4)
	v_mad_u64_u32 v[25:26], null, s23, v31, v[1:2]
	v_lshlrev_b32_e32 v29, 5, v27
	v_lshlrev_b64 v[4:5], 3, v[4:5]
	v_ashrrev_i32_e32 v32, 31, v30
	v_mul_lo_u32 v31, s23, v30
	v_mov_b32_e32 v22, v25
	v_add_co_u32 v9, vcc_lo, v2, v29
	v_add_co_ci_u32_e32 v11, vcc_lo, 0, v3, vcc_lo
	v_add_co_u32 v12, vcc_lo, v4, v6
	v_add_co_ci_u32_e32 v13, vcc_lo, v5, v7, vcc_lo
	v_lshlrev_b64 v[1:2], 3, v[19:20]
	v_mad_u64_u32 v[4:5], null, s22, v30, 0
	v_mul_lo_u32 v26, s22, v32
	v_mov_b32_e32 v3, v24
	s_delay_alu instid0(VALU_DEP_4) | instskip(SKIP_1) | instid1(VALU_DEP_3)
	v_add_co_u32 v19, vcc_lo, v1, v29
	v_add_co_ci_u32_e32 v20, vcc_lo, 0, v2, vcc_lo
	v_mad_u64_u32 v[24:25], null, s23, v28, v[3:4]
	v_add_nc_u32_e32 v28, 0xc0, v0
	v_lshlrev_b64 v[2:3], 3, v[21:22]
	v_add3_u32 v5, v5, v26, v31
	v_mad_u64_u32 v[0:1], null, s22, v27, 0
	s_delay_alu instid0(VALU_DEP_4)
	v_ashrrev_i32_e32 v25, 31, v28
	v_mul_lo_u32 v31, s23, v28
	v_add_co_u32 v21, vcc_lo, v2, v6
	v_add_co_ci_u32_e32 v22, vcc_lo, v3, v7, vcc_lo
	v_lshlrev_b64 v[2:3], 3, v[4:5]
	v_mul_lo_u32 v30, s22, v25
	v_mad_u64_u32 v[25:26], null, s22, v28, 0
	s_delay_alu instid0(VALU_DEP_3) | instskip(SKIP_2) | instid1(VALU_DEP_4)
	v_mad_u64_u32 v[4:5], null, s23, v27, v[1:2]
	v_lshlrev_b64 v[27:28], 3, v[23:24]
	v_add_co_u32 v23, vcc_lo, v2, v29
	v_add3_u32 v26, v26, v30, v31
	v_add_co_ci_u32_e32 v24, vcc_lo, 0, v3, vcc_lo
	v_mov_b32_e32 v1, v4
	s_delay_alu instid0(VALU_DEP_3) | instskip(SKIP_1) | instid1(VALU_DEP_3)
	v_lshlrev_b64 v[2:3], 3, v[25:26]
	v_add_co_u32 v25, vcc_lo, v27, v6
	v_lshlrev_b64 v[0:1], 5, v[0:1]
	v_add_co_ci_u32_e32 v26, vcc_lo, v28, v7, vcc_lo
	s_delay_alu instid0(VALU_DEP_4) | instskip(SKIP_1) | instid1(VALU_DEP_4)
	v_add_co_u32 v27, vcc_lo, v2, v29
	v_add_co_ci_u32_e32 v28, vcc_lo, 0, v3, vcc_lo
	v_add_co_u32 v29, vcc_lo, v0, v6
	v_add_co_ci_u32_e32 v30, vcc_lo, v1, v7, vcc_lo
	v_mov_b32_e32 v0, s8
	v_dual_mov_b32 v2, s10 :: v_dual_mov_b32 v1, s9
	v_mov_b32_e32 v3, s11
	s_cselect_b32 s9, -1, 0
	s_lshl_b64 s[10:11], s[22:23], 9
	s_branch .LBB8_4
.LBB8_2:                                ;   in Loop: Header=BB8_4 Depth=1
	s_delay_alu instid0(VALU_DEP_1) | instskip(NEXT) | instid1(VALU_DEP_2)
	v_dual_mov_b32 v0, v4 :: v_dual_mov_b32 v1, v5
	v_dual_mov_b32 v2, v6 :: v_dual_mov_b32 v3, v7
.LBB8_3:                                ;   in Loop: Header=BB8_4 Depth=1
	s_or_b32 exec_lo, exec_lo, s14
	v_add_co_u32 v9, vcc_lo, 0x200, v9
	v_add_co_ci_u32_e32 v11, vcc_lo, 0, v11, vcc_lo
	v_add_co_u32 v12, vcc_lo, v12, s10
	v_add_co_ci_u32_e32 v13, vcc_lo, s11, v13, vcc_lo
	;; [unrolled: 2-line block ×5, first 2 shown]
	v_add_co_u32 v25, vcc_lo, v25, s10
	v_add_nc_u32_e32 v8, 64, v8
	v_add_co_ci_u32_e32 v26, vcc_lo, s11, v26, vcc_lo
	v_add_co_u32 v27, vcc_lo, 0x200, v27
	v_add_co_ci_u32_e32 v28, vcc_lo, 0, v28, vcc_lo
	s_delay_alu instid0(VALU_DEP_4) | instskip(SKIP_1) | instid1(VALU_DEP_1)
	v_cmp_le_i32_e32 vcc_lo, s12, v8
	v_add_co_u32 v29, s4, v29, s10
	v_add_co_ci_u32_e64 v30, s4, s11, v30, s4
	s_or_b32 s8, vcc_lo, s8
	s_delay_alu instid0(SALU_CYCLE_1)
	s_and_not1_b32 exec_lo, exec_lo, s8
	s_cbranch_execz .LBB8_27
.LBB8_4:                                ; =>This Inner Loop Header: Depth=1
	s_and_saveexec_b32 s14, s0
	s_cbranch_execnz .LBB8_8
; %bb.5:                                ;   in Loop: Header=BB8_4 Depth=1
	s_or_b32 exec_lo, exec_lo, s14
	s_and_saveexec_b32 s14, s1
	s_cbranch_execnz .LBB8_13
.LBB8_6:                                ;   in Loop: Header=BB8_4 Depth=1
	s_or_b32 exec_lo, exec_lo, s14
	s_and_saveexec_b32 s14, s2
	s_cbranch_execnz .LBB8_18
.LBB8_7:                                ;   in Loop: Header=BB8_4 Depth=1
	s_or_b32 exec_lo, exec_lo, s14
	s_and_saveexec_b32 s14, s3
	s_cbranch_execz .LBB8_3
	s_branch .LBB8_23
.LBB8_8:                                ;   in Loop: Header=BB8_4 Depth=1
	v_add_nc_u32_e32 v31, 1, v0
	s_and_not1_b32 vcc_lo, exec_lo, s9
	s_cbranch_vccnz .LBB8_10
; %bb.9:                                ;   in Loop: Header=BB8_4 Depth=1
	v_add_co_u32 v32, vcc_lo, s20, v9
	v_add_co_ci_u32_e32 v33, vcc_lo, s21, v11, vcc_lo
	s_clause 0x1
	global_load_b128 v[4:7], v[32:33], off
	global_load_b128 v[32:35], v[32:33], off offset:16
	s_waitcnt vmcnt(1)
	v_cmp_neq_f32_e32 vcc_lo, 0, v4
	v_cmp_neq_f32_e64 s4, 0, v5
	s_delay_alu instid0(VALU_DEP_1) | instskip(SKIP_3) | instid1(VALU_DEP_2)
	s_or_b32 vcc_lo, vcc_lo, s4
	v_cmp_neq_f32_e64 s4, 0, v7
	v_cndmask_b32_e32 v4, v0, v31, vcc_lo
	v_cmp_neq_f32_e32 vcc_lo, 0, v6
	v_dual_mov_b32 v6, v2 :: v_dual_add_nc_u32 v5, 1, v4
	s_delay_alu instid0(VALU_DEP_4) | instskip(SKIP_2) | instid1(VALU_DEP_2)
	s_or_b32 vcc_lo, vcc_lo, s4
	s_waitcnt vmcnt(0)
	v_cmp_neq_f32_e64 s4, 0, v33
	v_cndmask_b32_e32 v4, v4, v5, vcc_lo
	v_cmp_neq_f32_e32 vcc_lo, 0, v32
	s_delay_alu instid0(VALU_DEP_2) | instskip(NEXT) | instid1(VALU_DEP_4)
	v_add_nc_u32_e32 v5, 1, v4
	s_or_b32 vcc_lo, vcc_lo, s4
	v_cmp_neq_f32_e64 s4, 0, v35
	s_delay_alu instid0(VALU_DEP_2) | instskip(SKIP_2) | instid1(VALU_DEP_3)
	v_cndmask_b32_e32 v4, v4, v5, vcc_lo
	v_cmp_neq_f32_e32 vcc_lo, 0, v34
	v_mov_b32_e32 v5, v1
	v_add_nc_u32_e32 v7, 1, v4
	s_or_b32 vcc_lo, vcc_lo, s4
	s_delay_alu instid0(VALU_DEP_1)
	v_dual_cndmask_b32 v4, v4, v7 :: v_dual_mov_b32 v7, v3
	s_cbranch_execz .LBB8_11
	s_branch .LBB8_12
.LBB8_10:                               ;   in Loop: Header=BB8_4 Depth=1
                                        ; implicit-def: $vgpr4_vgpr5_vgpr6_vgpr7
.LBB8_11:                               ;   in Loop: Header=BB8_4 Depth=1
	v_add_co_u32 v4, vcc_lo, s20, v29
	v_add_co_ci_u32_e32 v5, vcc_lo, s21, v30, vcc_lo
	v_add_co_u32 v6, vcc_lo, s20, v25
	v_add_co_ci_u32_e32 v7, vcc_lo, s21, v26, vcc_lo
	global_load_b64 v[4:5], v[4:5], off
	v_add_co_u32 v32, vcc_lo, s20, v21
	global_load_b64 v[6:7], v[6:7], off
	v_add_co_ci_u32_e32 v33, vcc_lo, s21, v22, vcc_lo
	v_add_co_u32 v34, vcc_lo, s20, v12
	v_add_co_ci_u32_e32 v35, vcc_lo, s21, v13, vcc_lo
	s_clause 0x1
	global_load_b64 v[32:33], v[32:33], off
	global_load_b64 v[34:35], v[34:35], off
	s_waitcnt vmcnt(3)
	v_cmp_neq_f32_e32 vcc_lo, 0, v4
	v_cmp_neq_f32_e64 s4, 0, v5
	s_delay_alu instid0(VALU_DEP_1) | instskip(SKIP_4) | instid1(VALU_DEP_2)
	s_or_b32 vcc_lo, vcc_lo, s4
	s_waitcnt vmcnt(2)
	v_cmp_neq_f32_e64 s4, 0, v7
	v_cndmask_b32_e32 v0, v0, v31, vcc_lo
	v_cmp_neq_f32_e32 vcc_lo, 0, v6
	v_add_nc_u32_e32 v4, 1, v0
	s_delay_alu instid0(VALU_DEP_4) | instskip(SKIP_2) | instid1(VALU_DEP_2)
	s_or_b32 vcc_lo, vcc_lo, s4
	s_waitcnt vmcnt(1)
	v_cmp_neq_f32_e64 s4, 0, v33
	v_cndmask_b32_e32 v0, v0, v4, vcc_lo
	v_cmp_neq_f32_e32 vcc_lo, 0, v32
	s_delay_alu instid0(VALU_DEP_2) | instskip(NEXT) | instid1(VALU_DEP_4)
	v_add_nc_u32_e32 v4, 1, v0
	s_or_b32 vcc_lo, vcc_lo, s4
	s_waitcnt vmcnt(0)
	v_cmp_neq_f32_e64 s4, 0, v35
	s_delay_alu instid0(VALU_DEP_2) | instskip(SKIP_1) | instid1(VALU_DEP_2)
	v_cndmask_b32_e32 v0, v0, v4, vcc_lo
	v_cmp_neq_f32_e32 vcc_lo, 0, v34
	v_add_nc_u32_e32 v4, 1, v0
	s_delay_alu instid0(VALU_DEP_4) | instskip(NEXT) | instid1(VALU_DEP_1)
	s_or_b32 vcc_lo, vcc_lo, s4
	v_cndmask_b32_e32 v0, v0, v4, vcc_lo
	v_dual_mov_b32 v7, v3 :: v_dual_mov_b32 v6, v2
	s_delay_alu instid0(VALU_DEP_2)
	v_dual_mov_b32 v5, v1 :: v_dual_mov_b32 v4, v0
.LBB8_12:                               ;   in Loop: Header=BB8_4 Depth=1
	s_delay_alu instid0(VALU_DEP_1) | instskip(NEXT) | instid1(VALU_DEP_2)
	v_dual_mov_b32 v0, v4 :: v_dual_mov_b32 v1, v5
	v_dual_mov_b32 v2, v6 :: v_dual_mov_b32 v3, v7
	s_or_b32 exec_lo, exec_lo, s14
	s_and_saveexec_b32 s14, s1
	s_cbranch_execz .LBB8_6
.LBB8_13:                               ;   in Loop: Header=BB8_4 Depth=1
	v_add_nc_u32_e32 v31, 1, v1
	s_and_not1_b32 vcc_lo, exec_lo, s9
	s_cbranch_vccnz .LBB8_15
; %bb.14:                               ;   in Loop: Header=BB8_4 Depth=1
	v_add_co_u32 v32, vcc_lo, s20, v19
	v_add_co_ci_u32_e32 v33, vcc_lo, s21, v20, vcc_lo
	s_clause 0x1
	global_load_b128 v[4:7], v[32:33], off
	global_load_b128 v[32:35], v[32:33], off offset:16
	s_waitcnt vmcnt(1)
	v_cmp_neq_f32_e32 vcc_lo, 0, v4
	v_cmp_neq_f32_e64 s4, 0, v5
	s_delay_alu instid0(VALU_DEP_1) | instskip(SKIP_3) | instid1(VALU_DEP_2)
	s_or_b32 vcc_lo, vcc_lo, s4
	v_cmp_neq_f32_e64 s4, 0, v7
	v_cndmask_b32_e32 v4, v1, v31, vcc_lo
	v_cmp_neq_f32_e32 vcc_lo, 0, v6
	v_dual_mov_b32 v6, v2 :: v_dual_add_nc_u32 v5, 1, v4
	s_delay_alu instid0(VALU_DEP_4) | instskip(SKIP_2) | instid1(VALU_DEP_2)
	s_or_b32 vcc_lo, vcc_lo, s4
	s_waitcnt vmcnt(0)
	v_cmp_neq_f32_e64 s4, 0, v33
	v_cndmask_b32_e32 v4, v4, v5, vcc_lo
	v_cmp_neq_f32_e32 vcc_lo, 0, v32
	s_delay_alu instid0(VALU_DEP_2) | instskip(NEXT) | instid1(VALU_DEP_4)
	v_add_nc_u32_e32 v5, 1, v4
	s_or_b32 vcc_lo, vcc_lo, s4
	v_cmp_neq_f32_e64 s4, 0, v35
	s_delay_alu instid0(VALU_DEP_2) | instskip(SKIP_1) | instid1(VALU_DEP_2)
	v_cndmask_b32_e32 v5, v4, v5, vcc_lo
	v_cmp_neq_f32_e32 vcc_lo, 0, v34
	v_dual_mov_b32 v4, v0 :: v_dual_add_nc_u32 v7, 1, v5
	s_delay_alu instid0(VALU_DEP_4) | instskip(NEXT) | instid1(VALU_DEP_1)
	s_or_b32 vcc_lo, vcc_lo, s4
	v_cndmask_b32_e32 v5, v5, v7, vcc_lo
	v_mov_b32_e32 v7, v3
	s_cbranch_execz .LBB8_16
	s_branch .LBB8_17
.LBB8_15:                               ;   in Loop: Header=BB8_4 Depth=1
                                        ; implicit-def: $vgpr4_vgpr5_vgpr6_vgpr7
.LBB8_16:                               ;   in Loop: Header=BB8_4 Depth=1
	v_add_co_u32 v4, vcc_lo, s20, v29
	v_add_co_ci_u32_e32 v5, vcc_lo, s21, v30, vcc_lo
	v_add_co_u32 v6, vcc_lo, s20, v25
	v_add_co_ci_u32_e32 v7, vcc_lo, s21, v26, vcc_lo
	global_load_b64 v[4:5], v[4:5], off offset:512
	v_add_co_u32 v32, vcc_lo, s20, v21
	global_load_b64 v[6:7], v[6:7], off offset:512
	v_add_co_ci_u32_e32 v33, vcc_lo, s21, v22, vcc_lo
	v_add_co_u32 v34, vcc_lo, s20, v12
	v_add_co_ci_u32_e32 v35, vcc_lo, s21, v13, vcc_lo
	s_clause 0x1
	global_load_b64 v[32:33], v[32:33], off offset:512
	global_load_b64 v[34:35], v[34:35], off offset:512
	s_waitcnt vmcnt(3)
	v_cmp_neq_f32_e32 vcc_lo, 0, v4
	v_cmp_neq_f32_e64 s4, 0, v5
	s_delay_alu instid0(VALU_DEP_1) | instskip(SKIP_4) | instid1(VALU_DEP_2)
	s_or_b32 vcc_lo, vcc_lo, s4
	s_waitcnt vmcnt(2)
	v_cmp_neq_f32_e64 s4, 0, v7
	v_cndmask_b32_e32 v1, v1, v31, vcc_lo
	v_cmp_neq_f32_e32 vcc_lo, 0, v6
	v_add_nc_u32_e32 v4, 1, v1
	s_delay_alu instid0(VALU_DEP_4) | instskip(SKIP_2) | instid1(VALU_DEP_2)
	s_or_b32 vcc_lo, vcc_lo, s4
	s_waitcnt vmcnt(1)
	v_cmp_neq_f32_e64 s4, 0, v33
	v_cndmask_b32_e32 v1, v1, v4, vcc_lo
	v_cmp_neq_f32_e32 vcc_lo, 0, v32
	s_delay_alu instid0(VALU_DEP_2) | instskip(NEXT) | instid1(VALU_DEP_4)
	v_add_nc_u32_e32 v4, 1, v1
	s_or_b32 vcc_lo, vcc_lo, s4
	s_waitcnt vmcnt(0)
	v_cmp_neq_f32_e64 s4, 0, v35
	s_delay_alu instid0(VALU_DEP_2) | instskip(SKIP_1) | instid1(VALU_DEP_2)
	v_cndmask_b32_e32 v1, v1, v4, vcc_lo
	v_cmp_neq_f32_e32 vcc_lo, 0, v34
	v_add_nc_u32_e32 v4, 1, v1
	s_delay_alu instid0(VALU_DEP_4) | instskip(NEXT) | instid1(VALU_DEP_1)
	s_or_b32 vcc_lo, vcc_lo, s4
	v_cndmask_b32_e32 v1, v1, v4, vcc_lo
	v_dual_mov_b32 v7, v3 :: v_dual_mov_b32 v6, v2
	s_delay_alu instid0(VALU_DEP_2)
	v_dual_mov_b32 v4, v0 :: v_dual_mov_b32 v5, v1
.LBB8_17:                               ;   in Loop: Header=BB8_4 Depth=1
	s_delay_alu instid0(VALU_DEP_1) | instskip(NEXT) | instid1(VALU_DEP_2)
	v_dual_mov_b32 v0, v4 :: v_dual_mov_b32 v1, v5
	v_dual_mov_b32 v2, v6 :: v_dual_mov_b32 v3, v7
	s_or_b32 exec_lo, exec_lo, s14
	s_and_saveexec_b32 s14, s2
	s_cbranch_execz .LBB8_7
.LBB8_18:                               ;   in Loop: Header=BB8_4 Depth=1
	s_delay_alu instid0(VALU_DEP_1)
	v_add_nc_u32_e32 v31, 1, v2
	s_and_not1_b32 vcc_lo, exec_lo, s9
	s_cbranch_vccnz .LBB8_20
; %bb.19:                               ;   in Loop: Header=BB8_4 Depth=1
	v_add_co_u32 v32, vcc_lo, s20, v23
	v_add_co_ci_u32_e32 v33, vcc_lo, s21, v24, vcc_lo
	s_clause 0x1
	global_load_b128 v[4:7], v[32:33], off
	global_load_b128 v[32:35], v[32:33], off offset:16
	s_waitcnt vmcnt(1)
	v_cmp_neq_f32_e32 vcc_lo, 0, v4
	v_cmp_neq_f32_e64 s4, 0, v5
	s_delay_alu instid0(VALU_DEP_1) | instskip(SKIP_3) | instid1(VALU_DEP_2)
	s_or_b32 vcc_lo, vcc_lo, s4
	v_cmp_neq_f32_e64 s4, 0, v7
	v_cndmask_b32_e32 v4, v2, v31, vcc_lo
	v_cmp_neq_f32_e32 vcc_lo, 0, v6
	v_add_nc_u32_e32 v5, 1, v4
	s_delay_alu instid0(VALU_DEP_4) | instskip(SKIP_2) | instid1(VALU_DEP_2)
	s_or_b32 vcc_lo, vcc_lo, s4
	s_waitcnt vmcnt(0)
	v_cmp_neq_f32_e64 s4, 0, v33
	v_cndmask_b32_e32 v4, v4, v5, vcc_lo
	v_cmp_neq_f32_e32 vcc_lo, 0, v32
	s_delay_alu instid0(VALU_DEP_2) | instskip(NEXT) | instid1(VALU_DEP_4)
	v_add_nc_u32_e32 v5, 1, v4
	s_or_b32 vcc_lo, vcc_lo, s4
	v_cmp_neq_f32_e64 s4, 0, v35
	s_delay_alu instid0(VALU_DEP_2) | instskip(SKIP_2) | instid1(VALU_DEP_3)
	v_cndmask_b32_e32 v6, v4, v5, vcc_lo
	v_cmp_neq_f32_e32 vcc_lo, 0, v34
	v_dual_mov_b32 v4, v0 :: v_dual_mov_b32 v5, v1
	v_add_nc_u32_e32 v7, 1, v6
	s_or_b32 vcc_lo, vcc_lo, s4
	s_delay_alu instid0(VALU_DEP_1)
	v_dual_cndmask_b32 v6, v6, v7 :: v_dual_mov_b32 v7, v3
	s_cbranch_execz .LBB8_21
	s_branch .LBB8_22
.LBB8_20:                               ;   in Loop: Header=BB8_4 Depth=1
                                        ; implicit-def: $vgpr4_vgpr5_vgpr6_vgpr7
.LBB8_21:                               ;   in Loop: Header=BB8_4 Depth=1
	v_add_co_u32 v4, vcc_lo, s20, v29
	v_add_co_ci_u32_e32 v5, vcc_lo, s21, v30, vcc_lo
	v_add_co_u32 v6, vcc_lo, s20, v25
	v_add_co_ci_u32_e32 v7, vcc_lo, s21, v26, vcc_lo
	global_load_b64 v[4:5], v[4:5], off offset:1024
	v_add_co_u32 v32, vcc_lo, s20, v21
	global_load_b64 v[6:7], v[6:7], off offset:1024
	v_add_co_ci_u32_e32 v33, vcc_lo, s21, v22, vcc_lo
	v_add_co_u32 v34, vcc_lo, s20, v12
	v_add_co_ci_u32_e32 v35, vcc_lo, s21, v13, vcc_lo
	s_clause 0x1
	global_load_b64 v[32:33], v[32:33], off offset:1024
	global_load_b64 v[34:35], v[34:35], off offset:1024
	s_waitcnt vmcnt(3)
	v_cmp_neq_f32_e32 vcc_lo, 0, v4
	v_cmp_neq_f32_e64 s4, 0, v5
	s_delay_alu instid0(VALU_DEP_1) | instskip(SKIP_4) | instid1(VALU_DEP_2)
	s_or_b32 vcc_lo, vcc_lo, s4
	s_waitcnt vmcnt(2)
	v_cmp_neq_f32_e64 s4, 0, v7
	v_cndmask_b32_e32 v2, v2, v31, vcc_lo
	v_cmp_neq_f32_e32 vcc_lo, 0, v6
	v_add_nc_u32_e32 v4, 1, v2
	s_delay_alu instid0(VALU_DEP_4) | instskip(SKIP_2) | instid1(VALU_DEP_2)
	s_or_b32 vcc_lo, vcc_lo, s4
	s_waitcnt vmcnt(1)
	v_cmp_neq_f32_e64 s4, 0, v33
	v_cndmask_b32_e32 v2, v2, v4, vcc_lo
	v_cmp_neq_f32_e32 vcc_lo, 0, v32
	s_delay_alu instid0(VALU_DEP_2) | instskip(NEXT) | instid1(VALU_DEP_4)
	v_add_nc_u32_e32 v4, 1, v2
	s_or_b32 vcc_lo, vcc_lo, s4
	s_waitcnt vmcnt(0)
	v_cmp_neq_f32_e64 s4, 0, v35
	s_delay_alu instid0(VALU_DEP_2) | instskip(SKIP_1) | instid1(VALU_DEP_2)
	v_cndmask_b32_e32 v2, v2, v4, vcc_lo
	v_cmp_neq_f32_e32 vcc_lo, 0, v34
	v_add_nc_u32_e32 v4, 1, v2
	s_delay_alu instid0(VALU_DEP_4) | instskip(NEXT) | instid1(VALU_DEP_1)
	s_or_b32 vcc_lo, vcc_lo, s4
	v_cndmask_b32_e32 v2, v2, v4, vcc_lo
	v_mov_b32_e32 v7, v3
	v_dual_mov_b32 v5, v1 :: v_dual_mov_b32 v4, v0
	s_delay_alu instid0(VALU_DEP_3)
	v_mov_b32_e32 v6, v2
.LBB8_22:                               ;   in Loop: Header=BB8_4 Depth=1
	s_delay_alu instid0(VALU_DEP_2) | instskip(NEXT) | instid1(VALU_DEP_2)
	v_dual_mov_b32 v0, v4 :: v_dual_mov_b32 v1, v5
	v_dual_mov_b32 v2, v6 :: v_dual_mov_b32 v3, v7
	s_or_b32 exec_lo, exec_lo, s14
	s_and_saveexec_b32 s14, s3
	s_cbranch_execz .LBB8_3
.LBB8_23:                               ;   in Loop: Header=BB8_4 Depth=1
	s_delay_alu instid0(VALU_DEP_1)
	v_add_nc_u32_e32 v31, 1, v3
	s_and_not1_b32 vcc_lo, exec_lo, s9
	s_cbranch_vccnz .LBB8_25
; %bb.24:                               ;   in Loop: Header=BB8_4 Depth=1
	v_add_co_u32 v32, vcc_lo, s20, v27
	v_add_co_ci_u32_e32 v33, vcc_lo, s21, v28, vcc_lo
	s_clause 0x1
	global_load_b128 v[4:7], v[32:33], off
	global_load_b128 v[32:35], v[32:33], off offset:16
	s_waitcnt vmcnt(1)
	v_cmp_neq_f32_e32 vcc_lo, 0, v4
	v_cmp_neq_f32_e64 s4, 0, v5
	s_delay_alu instid0(VALU_DEP_1) | instskip(SKIP_3) | instid1(VALU_DEP_2)
	s_or_b32 vcc_lo, vcc_lo, s4
	v_cmp_neq_f32_e64 s4, 0, v7
	v_cndmask_b32_e32 v4, v3, v31, vcc_lo
	v_cmp_neq_f32_e32 vcc_lo, 0, v6
	v_add_nc_u32_e32 v5, 1, v4
	s_delay_alu instid0(VALU_DEP_4) | instskip(SKIP_2) | instid1(VALU_DEP_2)
	s_or_b32 vcc_lo, vcc_lo, s4
	s_waitcnt vmcnt(0)
	v_cmp_neq_f32_e64 s4, 0, v33
	v_cndmask_b32_e32 v4, v4, v5, vcc_lo
	v_cmp_neq_f32_e32 vcc_lo, 0, v32
	s_delay_alu instid0(VALU_DEP_2) | instskip(NEXT) | instid1(VALU_DEP_4)
	v_add_nc_u32_e32 v5, 1, v4
	s_or_b32 vcc_lo, vcc_lo, s4
	v_cmp_neq_f32_e64 s4, 0, v35
	s_delay_alu instid0(VALU_DEP_2) | instskip(SKIP_2) | instid1(VALU_DEP_3)
	v_cndmask_b32_e32 v6, v4, v5, vcc_lo
	v_cmp_neq_f32_e32 vcc_lo, 0, v34
	v_dual_mov_b32 v4, v0 :: v_dual_mov_b32 v5, v1
	v_add_nc_u32_e32 v7, 1, v6
	s_or_b32 vcc_lo, vcc_lo, s4
	s_delay_alu instid0(VALU_DEP_1)
	v_cndmask_b32_e32 v7, v6, v7, vcc_lo
	v_mov_b32_e32 v6, v2
	s_cbranch_execnz .LBB8_2
	s_branch .LBB8_26
.LBB8_25:                               ;   in Loop: Header=BB8_4 Depth=1
                                        ; implicit-def: $vgpr4_vgpr5_vgpr6_vgpr7
.LBB8_26:                               ;   in Loop: Header=BB8_4 Depth=1
	v_add_co_u32 v4, vcc_lo, s20, v29
	v_add_co_ci_u32_e32 v5, vcc_lo, s21, v30, vcc_lo
	v_add_co_u32 v6, vcc_lo, s20, v25
	v_add_co_ci_u32_e32 v7, vcc_lo, s21, v26, vcc_lo
	global_load_b64 v[4:5], v[4:5], off offset:1536
	v_add_co_u32 v32, vcc_lo, s20, v21
	global_load_b64 v[6:7], v[6:7], off offset:1536
	v_add_co_ci_u32_e32 v33, vcc_lo, s21, v22, vcc_lo
	v_add_co_u32 v34, vcc_lo, s20, v12
	v_add_co_ci_u32_e32 v35, vcc_lo, s21, v13, vcc_lo
	s_clause 0x1
	global_load_b64 v[32:33], v[32:33], off offset:1536
	global_load_b64 v[34:35], v[34:35], off offset:1536
	s_waitcnt vmcnt(3)
	v_cmp_neq_f32_e32 vcc_lo, 0, v4
	v_cmp_neq_f32_e64 s4, 0, v5
	s_delay_alu instid0(VALU_DEP_1) | instskip(SKIP_4) | instid1(VALU_DEP_2)
	s_or_b32 vcc_lo, vcc_lo, s4
	s_waitcnt vmcnt(2)
	v_cmp_neq_f32_e64 s4, 0, v7
	v_cndmask_b32_e32 v3, v3, v31, vcc_lo
	v_cmp_neq_f32_e32 vcc_lo, 0, v6
	v_add_nc_u32_e32 v4, 1, v3
	s_delay_alu instid0(VALU_DEP_4) | instskip(SKIP_2) | instid1(VALU_DEP_2)
	s_or_b32 vcc_lo, vcc_lo, s4
	s_waitcnt vmcnt(1)
	v_cmp_neq_f32_e64 s4, 0, v33
	v_cndmask_b32_e32 v3, v3, v4, vcc_lo
	v_cmp_neq_f32_e32 vcc_lo, 0, v32
	s_delay_alu instid0(VALU_DEP_2) | instskip(NEXT) | instid1(VALU_DEP_4)
	v_add_nc_u32_e32 v4, 1, v3
	s_or_b32 vcc_lo, vcc_lo, s4
	s_waitcnt vmcnt(0)
	v_cmp_neq_f32_e64 s4, 0, v35
	s_delay_alu instid0(VALU_DEP_2) | instskip(SKIP_1) | instid1(VALU_DEP_2)
	v_cndmask_b32_e32 v3, v3, v4, vcc_lo
	v_cmp_neq_f32_e32 vcc_lo, 0, v34
	v_add_nc_u32_e32 v4, 1, v3
	s_delay_alu instid0(VALU_DEP_4) | instskip(NEXT) | instid1(VALU_DEP_1)
	s_or_b32 vcc_lo, vcc_lo, s4
	v_cndmask_b32_e32 v3, v3, v4, vcc_lo
	s_delay_alu instid0(VALU_DEP_1)
	v_dual_mov_b32 v7, v3 :: v_dual_mov_b32 v6, v2
	v_dual_mov_b32 v5, v1 :: v_dual_mov_b32 v4, v0
	s_branch .LBB8_2
.LBB8_27:
	s_or_b32 exec_lo, exec_lo, s8
.LBB8_28:
	s_delay_alu instid0(SALU_CYCLE_1) | instskip(SKIP_1) | instid1(SALU_CYCLE_1)
	s_or_b32 exec_lo, exec_lo, s13
	s_sub_i32 s0, s18, s12
	s_cmp_lt_i32 s0, 1
	s_cbranch_scc1 .LBB8_126
; %bb.29:
	v_mov_b32_e32 v9, 0
	s_cmp_eq_u32 s16, 1
	v_ashrrev_i32_e32 v11, 31, v10
	s_cselect_b32 s2, -1, 0
	s_cmp_lg_u32 s16, 1
	v_lshlrev_b64 v[4:5], 3, v[8:9]
	s_cselect_b32 s1, -1, 0
	s_mov_b32 s3, exec_lo
	s_delay_alu instid0(VALU_DEP_1) | instskip(NEXT) | instid1(VALU_DEP_1)
	v_add_co_u32 v9, s0, s20, v4
	v_add_co_ci_u32_e64 v19, s0, s21, v5, s0
	v_cmpx_gt_i32_e64 s17, v10
	s_cbranch_execnz .LBB8_33
; %bb.30:
	s_or_b32 exec_lo, exec_lo, s3
	s_delay_alu instid0(SALU_CYCLE_1)
	s_mov_b32 s3, exec_lo
	v_cmpx_gt_i32_e64 s17, v18
	s_cbranch_execnz .LBB8_56
.LBB8_31:
	s_or_b32 exec_lo, exec_lo, s3
	s_delay_alu instid0(SALU_CYCLE_1)
	s_mov_b32 s3, exec_lo
	v_cmpx_gt_i32_e64 s17, v17
	s_cbranch_execnz .LBB8_79
.LBB8_32:
	s_or_b32 exec_lo, exec_lo, s3
	s_delay_alu instid0(SALU_CYCLE_1)
	s_mov_b32 s3, exec_lo
	v_cmpx_gt_i32_e64 s17, v16
	s_cbranch_execnz .LBB8_102
	s_branch .LBB8_125
.LBB8_33:
	v_mul_lo_u32 v6, v10, s23
	v_mul_lo_u32 v7, v11, s22
	v_mad_u64_u32 v[4:5], null, v10, s22, 0
	s_mov_b32 s4, exec_lo
	s_delay_alu instid0(VALU_DEP_1) | instskip(SKIP_1) | instid1(VALU_DEP_2)
	v_add3_u32 v5, v5, v6, v7
	v_lshlrev_b64 v[6:7], 3, v[10:11]
	v_lshlrev_b64 v[4:5], 3, v[4:5]
	s_delay_alu instid0(VALU_DEP_2) | instskip(NEXT) | instid1(VALU_DEP_3)
	v_add_co_u32 v20, vcc_lo, s20, v6
	v_add_co_ci_u32_e32 v21, vcc_lo, s21, v7, vcc_lo
	s_delay_alu instid0(VALU_DEP_3) | instskip(NEXT) | instid1(VALU_DEP_4)
	v_add_co_u32 v4, vcc_lo, v9, v4
	v_add_co_ci_u32_e32 v5, vcc_lo, v19, v5, vcc_lo
	v_cmpx_gt_i32_e64 s18, v8
	s_cbranch_execz .LBB8_37
; %bb.34:
	s_delay_alu instid0(VALU_DEP_2)
	v_dual_mov_b32 v7, v5 :: v_dual_mov_b32 v6, v4
	s_and_not1_b32 vcc_lo, exec_lo, s2
	s_cbranch_vccnz .LBB8_36
; %bb.35:
	v_mad_u64_u32 v[6:7], null, v8, s22, 0
	s_delay_alu instid0(VALU_DEP_1) | instskip(NEXT) | instid1(VALU_DEP_1)
	v_mad_u64_u32 v[12:13], null, v8, s23, v[7:8]
	v_mov_b32_e32 v7, v12
	s_delay_alu instid0(VALU_DEP_1) | instskip(NEXT) | instid1(VALU_DEP_1)
	v_lshlrev_b64 v[6:7], 3, v[6:7]
	v_add_co_u32 v6, vcc_lo, v20, v6
	s_delay_alu instid0(VALU_DEP_2)
	v_add_co_ci_u32_e32 v7, vcc_lo, v21, v7, vcc_lo
.LBB8_36:
	global_load_b64 v[6:7], v[6:7], off
	s_waitcnt vmcnt(0)
	v_cmp_neq_f32_e32 vcc_lo, 0, v6
	v_cmp_neq_f32_e64 s0, 0, v7
	s_delay_alu instid0(VALU_DEP_1)
	s_or_b32 vcc_lo, vcc_lo, s0
	v_add_co_ci_u32_e32 v0, vcc_lo, 0, v0, vcc_lo
.LBB8_37:
	s_or_b32 exec_lo, exec_lo, s4
	v_or_b32_e32 v22, 1, v8
	s_mov_b32 s4, exec_lo
	s_delay_alu instid0(VALU_DEP_1)
	v_cmpx_gt_i32_e64 s18, v22
	s_cbranch_execz .LBB8_43
; %bb.38:
	s_and_not1_b32 vcc_lo, exec_lo, s1
	s_cbranch_vccnz .LBB8_40
; %bb.39:
	v_add_co_u32 v6, vcc_lo, v4, 8
	v_add_co_ci_u32_e32 v7, vcc_lo, 0, v5, vcc_lo
	v_add_co_u32 v12, vcc_lo, v4, 12
	v_add_co_ci_u32_e32 v13, vcc_lo, 0, v5, vcc_lo
	s_cbranch_execz .LBB8_41
	s_branch .LBB8_42
.LBB8_40:
                                        ; implicit-def: $vgpr6_vgpr7
                                        ; implicit-def: $vgpr12_vgpr13
.LBB8_41:
	v_mad_u64_u32 v[6:7], null, v22, s22, 0
	s_delay_alu instid0(VALU_DEP_1) | instskip(NEXT) | instid1(VALU_DEP_1)
	v_mad_u64_u32 v[12:13], null, v22, s23, v[7:8]
	v_mov_b32_e32 v7, v12
	s_delay_alu instid0(VALU_DEP_1) | instskip(NEXT) | instid1(VALU_DEP_1)
	v_lshlrev_b64 v[6:7], 3, v[6:7]
	v_add_co_u32 v6, vcc_lo, v20, v6
	s_delay_alu instid0(VALU_DEP_2) | instskip(NEXT) | instid1(VALU_DEP_2)
	v_add_co_ci_u32_e32 v7, vcc_lo, v21, v7, vcc_lo
	v_add_co_u32 v12, vcc_lo, v6, 4
	s_delay_alu instid0(VALU_DEP_2)
	v_add_co_ci_u32_e32 v13, vcc_lo, 0, v7, vcc_lo
.LBB8_42:
	global_load_b32 v6, v[6:7], off
	global_load_b32 v7, v[12:13], off
	s_waitcnt vmcnt(1)
	v_cmp_neq_f32_e32 vcc_lo, 0, v6
	s_waitcnt vmcnt(0)
	v_cmp_neq_f32_e64 s0, 0, v7
	s_delay_alu instid0(VALU_DEP_1)
	s_or_b32 vcc_lo, vcc_lo, s0
	v_add_co_ci_u32_e32 v0, vcc_lo, 0, v0, vcc_lo
.LBB8_43:
	s_or_b32 exec_lo, exec_lo, s4
	v_or_b32_e32 v22, 2, v8
	s_mov_b32 s4, exec_lo
	s_delay_alu instid0(VALU_DEP_1)
	v_cmpx_gt_i32_e64 s18, v22
	s_cbranch_execz .LBB8_49
; %bb.44:
	s_and_not1_b32 vcc_lo, exec_lo, s1
	s_cbranch_vccnz .LBB8_46
; %bb.45:
	v_add_co_u32 v6, vcc_lo, v4, 16
	v_add_co_ci_u32_e32 v7, vcc_lo, 0, v5, vcc_lo
	v_add_co_u32 v12, vcc_lo, v4, 20
	v_add_co_ci_u32_e32 v13, vcc_lo, 0, v5, vcc_lo
	s_cbranch_execz .LBB8_47
	s_branch .LBB8_48
.LBB8_46:
                                        ; implicit-def: $vgpr6_vgpr7
                                        ; implicit-def: $vgpr12_vgpr13
.LBB8_47:
	v_mad_u64_u32 v[6:7], null, v22, s22, 0
	s_delay_alu instid0(VALU_DEP_1) | instskip(NEXT) | instid1(VALU_DEP_1)
	v_mad_u64_u32 v[12:13], null, v22, s23, v[7:8]
	v_mov_b32_e32 v7, v12
	s_delay_alu instid0(VALU_DEP_1) | instskip(NEXT) | instid1(VALU_DEP_1)
	v_lshlrev_b64 v[6:7], 3, v[6:7]
	v_add_co_u32 v6, vcc_lo, v20, v6
	s_delay_alu instid0(VALU_DEP_2) | instskip(NEXT) | instid1(VALU_DEP_2)
	v_add_co_ci_u32_e32 v7, vcc_lo, v21, v7, vcc_lo
	v_add_co_u32 v12, vcc_lo, v6, 4
	s_delay_alu instid0(VALU_DEP_2)
	v_add_co_ci_u32_e32 v13, vcc_lo, 0, v7, vcc_lo
.LBB8_48:
	global_load_b32 v6, v[6:7], off
	global_load_b32 v7, v[12:13], off
	s_waitcnt vmcnt(1)
	v_cmp_neq_f32_e32 vcc_lo, 0, v6
	s_waitcnt vmcnt(0)
	v_cmp_neq_f32_e64 s0, 0, v7
	s_delay_alu instid0(VALU_DEP_1)
	s_or_b32 vcc_lo, vcc_lo, s0
	v_add_co_ci_u32_e32 v0, vcc_lo, 0, v0, vcc_lo
.LBB8_49:
	s_or_b32 exec_lo, exec_lo, s4
	v_or_b32_e32 v12, 3, v8
	s_mov_b32 s4, exec_lo
	s_delay_alu instid0(VALU_DEP_1)
	v_cmpx_gt_i32_e64 s18, v12
	s_cbranch_execz .LBB8_55
; %bb.50:
	s_and_not1_b32 vcc_lo, exec_lo, s1
	s_cbranch_vccnz .LBB8_52
; %bb.51:
	v_add_co_u32 v6, vcc_lo, v4, 24
	v_add_co_ci_u32_e32 v7, vcc_lo, 0, v5, vcc_lo
	v_add_co_u32 v4, vcc_lo, v4, 28
	v_add_co_ci_u32_e32 v5, vcc_lo, 0, v5, vcc_lo
	s_cbranch_execz .LBB8_53
	s_branch .LBB8_54
.LBB8_52:
                                        ; implicit-def: $vgpr6_vgpr7
                                        ; implicit-def: $vgpr4_vgpr5
.LBB8_53:
	v_mad_u64_u32 v[4:5], null, v12, s22, 0
	s_delay_alu instid0(VALU_DEP_1) | instskip(NEXT) | instid1(VALU_DEP_1)
	v_mad_u64_u32 v[6:7], null, v12, s23, v[5:6]
	v_mov_b32_e32 v5, v6
	s_delay_alu instid0(VALU_DEP_1) | instskip(NEXT) | instid1(VALU_DEP_1)
	v_lshlrev_b64 v[4:5], 3, v[4:5]
	v_add_co_u32 v6, vcc_lo, v20, v4
	s_delay_alu instid0(VALU_DEP_2) | instskip(NEXT) | instid1(VALU_DEP_2)
	v_add_co_ci_u32_e32 v7, vcc_lo, v21, v5, vcc_lo
	v_add_co_u32 v4, vcc_lo, v6, 4
	s_delay_alu instid0(VALU_DEP_2)
	v_add_co_ci_u32_e32 v5, vcc_lo, 0, v7, vcc_lo
.LBB8_54:
	global_load_b32 v6, v[6:7], off
	global_load_b32 v4, v[4:5], off
	s_waitcnt vmcnt(1)
	v_cmp_neq_f32_e32 vcc_lo, 0, v6
	s_waitcnt vmcnt(0)
	v_cmp_neq_f32_e64 s0, 0, v4
	s_delay_alu instid0(VALU_DEP_1)
	s_or_b32 vcc_lo, vcc_lo, s0
	v_add_co_ci_u32_e32 v0, vcc_lo, 0, v0, vcc_lo
.LBB8_55:
	s_or_b32 exec_lo, exec_lo, s4
	s_delay_alu instid0(SALU_CYCLE_1) | instskip(NEXT) | instid1(SALU_CYCLE_1)
	s_or_b32 exec_lo, exec_lo, s3
	s_mov_b32 s3, exec_lo
	v_cmpx_gt_i32_e64 s17, v18
	s_cbranch_execz .LBB8_31
.LBB8_56:
	v_ashrrev_i32_e32 v6, 31, v18
	v_mul_lo_u32 v7, v18, s23
	v_mad_u64_u32 v[4:5], null, v18, s22, 0
	s_mov_b32 s4, exec_lo
	s_delay_alu instid0(VALU_DEP_3) | instskip(NEXT) | instid1(VALU_DEP_1)
	v_mul_lo_u32 v6, v6, s22
	v_add3_u32 v5, v5, v7, v6
	v_lshlrev_b64 v[6:7], 3, v[10:11]
	s_delay_alu instid0(VALU_DEP_2) | instskip(NEXT) | instid1(VALU_DEP_2)
	v_lshlrev_b64 v[4:5], 3, v[4:5]
	v_add_co_u32 v18, vcc_lo, s20, v6
	s_delay_alu instid0(VALU_DEP_3) | instskip(NEXT) | instid1(VALU_DEP_3)
	v_add_co_ci_u32_e32 v20, vcc_lo, s21, v7, vcc_lo
	v_add_co_u32 v4, vcc_lo, v9, v4
	s_delay_alu instid0(VALU_DEP_4)
	v_add_co_ci_u32_e32 v5, vcc_lo, v19, v5, vcc_lo
	v_cmpx_gt_i32_e64 s18, v8
	s_cbranch_execz .LBB8_60
; %bb.57:
	s_delay_alu instid0(VALU_DEP_2)
	v_dual_mov_b32 v7, v5 :: v_dual_mov_b32 v6, v4
	s_and_not1_b32 vcc_lo, exec_lo, s2
	s_cbranch_vccnz .LBB8_59
; %bb.58:
	v_mad_u64_u32 v[6:7], null, v8, s22, 0
	s_delay_alu instid0(VALU_DEP_1) | instskip(NEXT) | instid1(VALU_DEP_1)
	v_mad_u64_u32 v[12:13], null, v8, s23, v[7:8]
	v_mov_b32_e32 v7, v12
	s_delay_alu instid0(VALU_DEP_1) | instskip(NEXT) | instid1(VALU_DEP_1)
	v_lshlrev_b64 v[6:7], 3, v[6:7]
	v_add_co_u32 v6, vcc_lo, v18, v6
	s_delay_alu instid0(VALU_DEP_2) | instskip(NEXT) | instid1(VALU_DEP_2)
	v_add_co_ci_u32_e32 v7, vcc_lo, v20, v7, vcc_lo
	v_add_co_u32 v6, vcc_lo, 0x200, v6
	s_delay_alu instid0(VALU_DEP_2)
	v_add_co_ci_u32_e32 v7, vcc_lo, 0, v7, vcc_lo
.LBB8_59:
	global_load_b64 v[6:7], v[6:7], off
	s_waitcnt vmcnt(0)
	v_cmp_neq_f32_e32 vcc_lo, 0, v6
	v_cmp_neq_f32_e64 s0, 0, v7
	s_delay_alu instid0(VALU_DEP_1)
	s_or_b32 vcc_lo, vcc_lo, s0
	v_add_co_ci_u32_e32 v1, vcc_lo, 0, v1, vcc_lo
.LBB8_60:
	s_or_b32 exec_lo, exec_lo, s4
	v_or_b32_e32 v21, 1, v8
	s_mov_b32 s4, exec_lo
	s_delay_alu instid0(VALU_DEP_1)
	v_cmpx_gt_i32_e64 s18, v21
	s_cbranch_execz .LBB8_66
; %bb.61:
	s_and_not1_b32 vcc_lo, exec_lo, s1
	s_cbranch_vccnz .LBB8_63
; %bb.62:
	v_add_co_u32 v6, vcc_lo, v4, 8
	v_add_co_ci_u32_e32 v7, vcc_lo, 0, v5, vcc_lo
	v_add_co_u32 v12, vcc_lo, v4, 12
	v_add_co_ci_u32_e32 v13, vcc_lo, 0, v5, vcc_lo
	s_cbranch_execz .LBB8_64
	s_branch .LBB8_65
.LBB8_63:
                                        ; implicit-def: $vgpr6_vgpr7
                                        ; implicit-def: $vgpr12_vgpr13
.LBB8_64:
	v_mad_u64_u32 v[6:7], null, v21, s22, 0
	s_delay_alu instid0(VALU_DEP_1) | instskip(NEXT) | instid1(VALU_DEP_1)
	v_mad_u64_u32 v[12:13], null, v21, s23, v[7:8]
	v_mov_b32_e32 v7, v12
	s_delay_alu instid0(VALU_DEP_1) | instskip(NEXT) | instid1(VALU_DEP_1)
	v_lshlrev_b64 v[6:7], 3, v[6:7]
	v_add_co_u32 v12, vcc_lo, v18, v6
	s_delay_alu instid0(VALU_DEP_2) | instskip(NEXT) | instid1(VALU_DEP_2)
	v_add_co_ci_u32_e32 v13, vcc_lo, v20, v7, vcc_lo
	v_add_co_u32 v6, vcc_lo, 0x200, v12
	s_delay_alu instid0(VALU_DEP_2)
	v_add_co_ci_u32_e32 v7, vcc_lo, 0, v13, vcc_lo
	v_add_co_u32 v12, vcc_lo, 0x204, v12
	v_add_co_ci_u32_e32 v13, vcc_lo, 0, v13, vcc_lo
.LBB8_65:
	global_load_b32 v6, v[6:7], off
	global_load_b32 v7, v[12:13], off
	s_waitcnt vmcnt(1)
	v_cmp_neq_f32_e32 vcc_lo, 0, v6
	s_waitcnt vmcnt(0)
	v_cmp_neq_f32_e64 s0, 0, v7
	s_delay_alu instid0(VALU_DEP_1)
	s_or_b32 vcc_lo, vcc_lo, s0
	v_add_co_ci_u32_e32 v1, vcc_lo, 0, v1, vcc_lo
.LBB8_66:
	s_or_b32 exec_lo, exec_lo, s4
	v_or_b32_e32 v21, 2, v8
	s_mov_b32 s4, exec_lo
	s_delay_alu instid0(VALU_DEP_1)
	v_cmpx_gt_i32_e64 s18, v21
	s_cbranch_execz .LBB8_72
; %bb.67:
	s_and_not1_b32 vcc_lo, exec_lo, s1
	s_cbranch_vccnz .LBB8_69
; %bb.68:
	v_add_co_u32 v6, vcc_lo, v4, 16
	v_add_co_ci_u32_e32 v7, vcc_lo, 0, v5, vcc_lo
	v_add_co_u32 v12, vcc_lo, v4, 20
	v_add_co_ci_u32_e32 v13, vcc_lo, 0, v5, vcc_lo
	s_cbranch_execz .LBB8_70
	s_branch .LBB8_71
.LBB8_69:
                                        ; implicit-def: $vgpr6_vgpr7
                                        ; implicit-def: $vgpr12_vgpr13
.LBB8_70:
	v_mad_u64_u32 v[6:7], null, v21, s22, 0
	s_delay_alu instid0(VALU_DEP_1) | instskip(NEXT) | instid1(VALU_DEP_1)
	v_mad_u64_u32 v[12:13], null, v21, s23, v[7:8]
	v_mov_b32_e32 v7, v12
	s_delay_alu instid0(VALU_DEP_1) | instskip(NEXT) | instid1(VALU_DEP_1)
	v_lshlrev_b64 v[6:7], 3, v[6:7]
	v_add_co_u32 v12, vcc_lo, v18, v6
	s_delay_alu instid0(VALU_DEP_2) | instskip(NEXT) | instid1(VALU_DEP_2)
	v_add_co_ci_u32_e32 v13, vcc_lo, v20, v7, vcc_lo
	v_add_co_u32 v6, vcc_lo, 0x200, v12
	s_delay_alu instid0(VALU_DEP_2)
	v_add_co_ci_u32_e32 v7, vcc_lo, 0, v13, vcc_lo
	v_add_co_u32 v12, vcc_lo, 0x204, v12
	v_add_co_ci_u32_e32 v13, vcc_lo, 0, v13, vcc_lo
.LBB8_71:
	global_load_b32 v6, v[6:7], off
	global_load_b32 v7, v[12:13], off
	s_waitcnt vmcnt(1)
	v_cmp_neq_f32_e32 vcc_lo, 0, v6
	s_waitcnt vmcnt(0)
	v_cmp_neq_f32_e64 s0, 0, v7
	s_delay_alu instid0(VALU_DEP_1)
	s_or_b32 vcc_lo, vcc_lo, s0
	v_add_co_ci_u32_e32 v1, vcc_lo, 0, v1, vcc_lo
.LBB8_72:
	s_or_b32 exec_lo, exec_lo, s4
	v_or_b32_e32 v12, 3, v8
	s_mov_b32 s4, exec_lo
	s_delay_alu instid0(VALU_DEP_1)
	v_cmpx_gt_i32_e64 s18, v12
	s_cbranch_execz .LBB8_78
; %bb.73:
	s_and_not1_b32 vcc_lo, exec_lo, s1
	s_cbranch_vccnz .LBB8_75
; %bb.74:
	v_add_co_u32 v6, vcc_lo, v4, 24
	v_add_co_ci_u32_e32 v7, vcc_lo, 0, v5, vcc_lo
	v_add_co_u32 v4, vcc_lo, v4, 28
	v_add_co_ci_u32_e32 v5, vcc_lo, 0, v5, vcc_lo
	s_cbranch_execz .LBB8_76
	s_branch .LBB8_77
.LBB8_75:
                                        ; implicit-def: $vgpr6_vgpr7
                                        ; implicit-def: $vgpr4_vgpr5
.LBB8_76:
	v_mad_u64_u32 v[4:5], null, v12, s22, 0
	s_delay_alu instid0(VALU_DEP_1) | instskip(NEXT) | instid1(VALU_DEP_1)
	v_mad_u64_u32 v[6:7], null, v12, s23, v[5:6]
	v_mov_b32_e32 v5, v6
	s_delay_alu instid0(VALU_DEP_1) | instskip(NEXT) | instid1(VALU_DEP_1)
	v_lshlrev_b64 v[4:5], 3, v[4:5]
	v_add_co_u32 v4, vcc_lo, v18, v4
	s_delay_alu instid0(VALU_DEP_2) | instskip(NEXT) | instid1(VALU_DEP_2)
	v_add_co_ci_u32_e32 v5, vcc_lo, v20, v5, vcc_lo
	v_add_co_u32 v6, vcc_lo, 0x200, v4
	s_delay_alu instid0(VALU_DEP_2)
	v_add_co_ci_u32_e32 v7, vcc_lo, 0, v5, vcc_lo
	v_add_co_u32 v4, vcc_lo, 0x204, v4
	v_add_co_ci_u32_e32 v5, vcc_lo, 0, v5, vcc_lo
.LBB8_77:
	global_load_b32 v6, v[6:7], off
	global_load_b32 v4, v[4:5], off
	s_waitcnt vmcnt(1)
	v_cmp_neq_f32_e32 vcc_lo, 0, v6
	s_waitcnt vmcnt(0)
	v_cmp_neq_f32_e64 s0, 0, v4
	s_delay_alu instid0(VALU_DEP_1)
	s_or_b32 vcc_lo, vcc_lo, s0
	v_add_co_ci_u32_e32 v1, vcc_lo, 0, v1, vcc_lo
.LBB8_78:
	s_or_b32 exec_lo, exec_lo, s4
	s_delay_alu instid0(SALU_CYCLE_1) | instskip(NEXT) | instid1(SALU_CYCLE_1)
	s_or_b32 exec_lo, exec_lo, s3
	s_mov_b32 s3, exec_lo
	v_cmpx_gt_i32_e64 s17, v17
	s_cbranch_execz .LBB8_32
.LBB8_79:
	v_ashrrev_i32_e32 v6, 31, v17
	v_mul_lo_u32 v7, v17, s23
	v_mad_u64_u32 v[4:5], null, v17, s22, 0
	s_mov_b32 s4, exec_lo
	s_delay_alu instid0(VALU_DEP_3) | instskip(NEXT) | instid1(VALU_DEP_1)
	v_mul_lo_u32 v6, v6, s22
	v_add3_u32 v5, v5, v7, v6
	v_lshlrev_b64 v[6:7], 3, v[10:11]
	s_delay_alu instid0(VALU_DEP_2) | instskip(NEXT) | instid1(VALU_DEP_2)
	v_lshlrev_b64 v[4:5], 3, v[4:5]
	v_add_co_u32 v17, vcc_lo, s20, v6
	s_delay_alu instid0(VALU_DEP_3) | instskip(NEXT) | instid1(VALU_DEP_3)
	v_add_co_ci_u32_e32 v18, vcc_lo, s21, v7, vcc_lo
	v_add_co_u32 v4, vcc_lo, v9, v4
	s_delay_alu instid0(VALU_DEP_4)
	v_add_co_ci_u32_e32 v5, vcc_lo, v19, v5, vcc_lo
	v_cmpx_gt_i32_e64 s18, v8
	s_cbranch_execz .LBB8_83
; %bb.80:
	s_delay_alu instid0(VALU_DEP_2)
	v_dual_mov_b32 v7, v5 :: v_dual_mov_b32 v6, v4
	s_and_not1_b32 vcc_lo, exec_lo, s2
	s_cbranch_vccnz .LBB8_82
; %bb.81:
	v_mad_u64_u32 v[6:7], null, v8, s22, 0
	s_delay_alu instid0(VALU_DEP_1) | instskip(NEXT) | instid1(VALU_DEP_1)
	v_mad_u64_u32 v[12:13], null, v8, s23, v[7:8]
	v_mov_b32_e32 v7, v12
	s_delay_alu instid0(VALU_DEP_1) | instskip(NEXT) | instid1(VALU_DEP_1)
	v_lshlrev_b64 v[6:7], 3, v[6:7]
	v_add_co_u32 v6, vcc_lo, v17, v6
	s_delay_alu instid0(VALU_DEP_2) | instskip(NEXT) | instid1(VALU_DEP_2)
	v_add_co_ci_u32_e32 v7, vcc_lo, v18, v7, vcc_lo
	v_add_co_u32 v6, vcc_lo, 0x400, v6
	s_delay_alu instid0(VALU_DEP_2)
	v_add_co_ci_u32_e32 v7, vcc_lo, 0, v7, vcc_lo
.LBB8_82:
	global_load_b64 v[6:7], v[6:7], off
	s_waitcnt vmcnt(0)
	v_cmp_neq_f32_e32 vcc_lo, 0, v6
	v_cmp_neq_f32_e64 s0, 0, v7
	s_delay_alu instid0(VALU_DEP_1)
	s_or_b32 vcc_lo, vcc_lo, s0
	v_add_co_ci_u32_e32 v2, vcc_lo, 0, v2, vcc_lo
.LBB8_83:
	s_or_b32 exec_lo, exec_lo, s4
	v_or_b32_e32 v20, 1, v8
	s_mov_b32 s4, exec_lo
	s_delay_alu instid0(VALU_DEP_1)
	v_cmpx_gt_i32_e64 s18, v20
	s_cbranch_execz .LBB8_89
; %bb.84:
	s_and_not1_b32 vcc_lo, exec_lo, s1
	s_cbranch_vccnz .LBB8_86
; %bb.85:
	v_add_co_u32 v6, vcc_lo, v4, 8
	v_add_co_ci_u32_e32 v7, vcc_lo, 0, v5, vcc_lo
	v_add_co_u32 v12, vcc_lo, v4, 12
	v_add_co_ci_u32_e32 v13, vcc_lo, 0, v5, vcc_lo
	s_cbranch_execz .LBB8_87
	s_branch .LBB8_88
.LBB8_86:
                                        ; implicit-def: $vgpr6_vgpr7
                                        ; implicit-def: $vgpr12_vgpr13
.LBB8_87:
	v_mad_u64_u32 v[6:7], null, v20, s22, 0
	s_delay_alu instid0(VALU_DEP_1) | instskip(NEXT) | instid1(VALU_DEP_1)
	v_mad_u64_u32 v[12:13], null, v20, s23, v[7:8]
	v_mov_b32_e32 v7, v12
	s_delay_alu instid0(VALU_DEP_1) | instskip(NEXT) | instid1(VALU_DEP_1)
	v_lshlrev_b64 v[6:7], 3, v[6:7]
	v_add_co_u32 v12, vcc_lo, v17, v6
	s_delay_alu instid0(VALU_DEP_2) | instskip(NEXT) | instid1(VALU_DEP_2)
	v_add_co_ci_u32_e32 v13, vcc_lo, v18, v7, vcc_lo
	v_add_co_u32 v6, vcc_lo, 0x400, v12
	s_delay_alu instid0(VALU_DEP_2)
	v_add_co_ci_u32_e32 v7, vcc_lo, 0, v13, vcc_lo
	v_add_co_u32 v12, vcc_lo, 0x404, v12
	v_add_co_ci_u32_e32 v13, vcc_lo, 0, v13, vcc_lo
.LBB8_88:
	global_load_b32 v6, v[6:7], off
	global_load_b32 v7, v[12:13], off
	s_waitcnt vmcnt(1)
	v_cmp_neq_f32_e32 vcc_lo, 0, v6
	s_waitcnt vmcnt(0)
	v_cmp_neq_f32_e64 s0, 0, v7
	s_delay_alu instid0(VALU_DEP_1)
	s_or_b32 vcc_lo, vcc_lo, s0
	v_add_co_ci_u32_e32 v2, vcc_lo, 0, v2, vcc_lo
.LBB8_89:
	s_or_b32 exec_lo, exec_lo, s4
	v_or_b32_e32 v20, 2, v8
	s_mov_b32 s4, exec_lo
	s_delay_alu instid0(VALU_DEP_1)
	v_cmpx_gt_i32_e64 s18, v20
	s_cbranch_execz .LBB8_95
; %bb.90:
	s_and_not1_b32 vcc_lo, exec_lo, s1
	s_cbranch_vccnz .LBB8_92
; %bb.91:
	v_add_co_u32 v6, vcc_lo, v4, 16
	v_add_co_ci_u32_e32 v7, vcc_lo, 0, v5, vcc_lo
	v_add_co_u32 v12, vcc_lo, v4, 20
	v_add_co_ci_u32_e32 v13, vcc_lo, 0, v5, vcc_lo
	s_cbranch_execz .LBB8_93
	s_branch .LBB8_94
.LBB8_92:
                                        ; implicit-def: $vgpr6_vgpr7
                                        ; implicit-def: $vgpr12_vgpr13
.LBB8_93:
	v_mad_u64_u32 v[6:7], null, v20, s22, 0
	s_delay_alu instid0(VALU_DEP_1) | instskip(NEXT) | instid1(VALU_DEP_1)
	v_mad_u64_u32 v[12:13], null, v20, s23, v[7:8]
	v_mov_b32_e32 v7, v12
	s_delay_alu instid0(VALU_DEP_1) | instskip(NEXT) | instid1(VALU_DEP_1)
	v_lshlrev_b64 v[6:7], 3, v[6:7]
	v_add_co_u32 v12, vcc_lo, v17, v6
	s_delay_alu instid0(VALU_DEP_2) | instskip(NEXT) | instid1(VALU_DEP_2)
	v_add_co_ci_u32_e32 v13, vcc_lo, v18, v7, vcc_lo
	v_add_co_u32 v6, vcc_lo, 0x400, v12
	s_delay_alu instid0(VALU_DEP_2)
	v_add_co_ci_u32_e32 v7, vcc_lo, 0, v13, vcc_lo
	v_add_co_u32 v12, vcc_lo, 0x404, v12
	v_add_co_ci_u32_e32 v13, vcc_lo, 0, v13, vcc_lo
.LBB8_94:
	global_load_b32 v6, v[6:7], off
	global_load_b32 v7, v[12:13], off
	s_waitcnt vmcnt(1)
	v_cmp_neq_f32_e32 vcc_lo, 0, v6
	s_waitcnt vmcnt(0)
	v_cmp_neq_f32_e64 s0, 0, v7
	s_delay_alu instid0(VALU_DEP_1)
	s_or_b32 vcc_lo, vcc_lo, s0
	v_add_co_ci_u32_e32 v2, vcc_lo, 0, v2, vcc_lo
.LBB8_95:
	s_or_b32 exec_lo, exec_lo, s4
	v_or_b32_e32 v12, 3, v8
	s_mov_b32 s4, exec_lo
	s_delay_alu instid0(VALU_DEP_1)
	v_cmpx_gt_i32_e64 s18, v12
	s_cbranch_execz .LBB8_101
; %bb.96:
	s_and_not1_b32 vcc_lo, exec_lo, s1
	s_cbranch_vccnz .LBB8_98
; %bb.97:
	v_add_co_u32 v6, vcc_lo, v4, 24
	v_add_co_ci_u32_e32 v7, vcc_lo, 0, v5, vcc_lo
	v_add_co_u32 v4, vcc_lo, v4, 28
	v_add_co_ci_u32_e32 v5, vcc_lo, 0, v5, vcc_lo
	s_cbranch_execz .LBB8_99
	s_branch .LBB8_100
.LBB8_98:
                                        ; implicit-def: $vgpr6_vgpr7
                                        ; implicit-def: $vgpr4_vgpr5
.LBB8_99:
	v_mad_u64_u32 v[4:5], null, v12, s22, 0
	s_delay_alu instid0(VALU_DEP_1) | instskip(NEXT) | instid1(VALU_DEP_1)
	v_mad_u64_u32 v[6:7], null, v12, s23, v[5:6]
	v_mov_b32_e32 v5, v6
	s_delay_alu instid0(VALU_DEP_1) | instskip(NEXT) | instid1(VALU_DEP_1)
	v_lshlrev_b64 v[4:5], 3, v[4:5]
	v_add_co_u32 v4, vcc_lo, v17, v4
	s_delay_alu instid0(VALU_DEP_2) | instskip(NEXT) | instid1(VALU_DEP_2)
	v_add_co_ci_u32_e32 v5, vcc_lo, v18, v5, vcc_lo
	v_add_co_u32 v6, vcc_lo, 0x400, v4
	s_delay_alu instid0(VALU_DEP_2)
	v_add_co_ci_u32_e32 v7, vcc_lo, 0, v5, vcc_lo
	v_add_co_u32 v4, vcc_lo, 0x404, v4
	v_add_co_ci_u32_e32 v5, vcc_lo, 0, v5, vcc_lo
.LBB8_100:
	global_load_b32 v6, v[6:7], off
	global_load_b32 v4, v[4:5], off
	s_waitcnt vmcnt(1)
	v_cmp_neq_f32_e32 vcc_lo, 0, v6
	s_waitcnt vmcnt(0)
	v_cmp_neq_f32_e64 s0, 0, v4
	s_delay_alu instid0(VALU_DEP_1)
	s_or_b32 vcc_lo, vcc_lo, s0
	v_add_co_ci_u32_e32 v2, vcc_lo, 0, v2, vcc_lo
.LBB8_101:
	s_or_b32 exec_lo, exec_lo, s4
	s_delay_alu instid0(SALU_CYCLE_1) | instskip(NEXT) | instid1(SALU_CYCLE_1)
	s_or_b32 exec_lo, exec_lo, s3
	s_mov_b32 s3, exec_lo
	v_cmpx_gt_i32_e64 s17, v16
	s_cbranch_execz .LBB8_125
.LBB8_102:
	v_ashrrev_i32_e32 v6, 31, v16
	v_mul_lo_u32 v7, v16, s23
	v_mad_u64_u32 v[4:5], null, v16, s22, 0
	s_mov_b32 s4, exec_lo
	s_delay_alu instid0(VALU_DEP_3) | instskip(NEXT) | instid1(VALU_DEP_1)
	v_mul_lo_u32 v6, v6, s22
	v_add3_u32 v5, v5, v7, v6
	v_lshlrev_b64 v[6:7], 3, v[10:11]
	s_delay_alu instid0(VALU_DEP_2) | instskip(NEXT) | instid1(VALU_DEP_2)
	v_lshlrev_b64 v[4:5], 3, v[4:5]
	v_add_co_u32 v11, vcc_lo, s20, v6
	s_delay_alu instid0(VALU_DEP_3) | instskip(NEXT) | instid1(VALU_DEP_3)
	v_add_co_ci_u32_e32 v12, vcc_lo, s21, v7, vcc_lo
	v_add_co_u32 v4, vcc_lo, v9, v4
	s_delay_alu instid0(VALU_DEP_4)
	v_add_co_ci_u32_e32 v5, vcc_lo, v19, v5, vcc_lo
	v_cmpx_gt_i32_e64 s18, v8
	s_cbranch_execz .LBB8_106
; %bb.103:
	s_delay_alu instid0(VALU_DEP_2)
	v_dual_mov_b32 v7, v5 :: v_dual_mov_b32 v6, v4
	s_and_not1_b32 vcc_lo, exec_lo, s2
	s_cbranch_vccnz .LBB8_105
; %bb.104:
	v_mad_u64_u32 v[6:7], null, v8, s22, 0
	s_delay_alu instid0(VALU_DEP_1) | instskip(NEXT) | instid1(VALU_DEP_1)
	v_mad_u64_u32 v[9:10], null, v8, s23, v[7:8]
	v_mov_b32_e32 v7, v9
	s_delay_alu instid0(VALU_DEP_1) | instskip(NEXT) | instid1(VALU_DEP_1)
	v_lshlrev_b64 v[6:7], 3, v[6:7]
	v_add_co_u32 v6, vcc_lo, v11, v6
	s_delay_alu instid0(VALU_DEP_2) | instskip(NEXT) | instid1(VALU_DEP_2)
	v_add_co_ci_u32_e32 v7, vcc_lo, v12, v7, vcc_lo
	v_add_co_u32 v6, vcc_lo, 0x600, v6
	s_delay_alu instid0(VALU_DEP_2)
	v_add_co_ci_u32_e32 v7, vcc_lo, 0, v7, vcc_lo
.LBB8_105:
	global_load_b64 v[6:7], v[6:7], off
	s_waitcnt vmcnt(0)
	v_cmp_neq_f32_e32 vcc_lo, 0, v6
	v_cmp_neq_f32_e64 s0, 0, v7
	s_delay_alu instid0(VALU_DEP_1)
	s_or_b32 vcc_lo, vcc_lo, s0
	v_add_co_ci_u32_e32 v3, vcc_lo, 0, v3, vcc_lo
.LBB8_106:
	s_or_b32 exec_lo, exec_lo, s4
	v_or_b32_e32 v16, 1, v8
	v_cndmask_b32_e64 v13, 0, 1, s1
	s_mov_b32 s2, exec_lo
	s_delay_alu instid0(VALU_DEP_2)
	v_cmpx_gt_i32_e64 s18, v16
	s_cbranch_execz .LBB8_112
; %bb.107:
	s_and_not1_b32 vcc_lo, exec_lo, s1
	s_cbranch_vccnz .LBB8_109
; %bb.108:
	v_add_co_u32 v6, vcc_lo, v4, 8
	v_add_co_ci_u32_e32 v7, vcc_lo, 0, v5, vcc_lo
	v_add_co_u32 v9, vcc_lo, v4, 12
	v_add_co_ci_u32_e32 v10, vcc_lo, 0, v5, vcc_lo
	s_cbranch_execz .LBB8_110
	s_branch .LBB8_111
.LBB8_109:
                                        ; implicit-def: $vgpr6_vgpr7
                                        ; implicit-def: $vgpr9_vgpr10
.LBB8_110:
	v_mad_u64_u32 v[6:7], null, v16, s22, 0
	s_delay_alu instid0(VALU_DEP_1) | instskip(NEXT) | instid1(VALU_DEP_1)
	v_mad_u64_u32 v[9:10], null, v16, s23, v[7:8]
	v_mov_b32_e32 v7, v9
	s_delay_alu instid0(VALU_DEP_1) | instskip(NEXT) | instid1(VALU_DEP_1)
	v_lshlrev_b64 v[6:7], 3, v[6:7]
	v_add_co_u32 v9, vcc_lo, v11, v6
	s_delay_alu instid0(VALU_DEP_2) | instskip(NEXT) | instid1(VALU_DEP_2)
	v_add_co_ci_u32_e32 v10, vcc_lo, v12, v7, vcc_lo
	v_add_co_u32 v6, vcc_lo, 0x600, v9
	s_delay_alu instid0(VALU_DEP_2)
	v_add_co_ci_u32_e32 v7, vcc_lo, 0, v10, vcc_lo
	v_add_co_u32 v9, vcc_lo, 0x604, v9
	v_add_co_ci_u32_e32 v10, vcc_lo, 0, v10, vcc_lo
.LBB8_111:
	global_load_b32 v6, v[6:7], off
	global_load_b32 v7, v[9:10], off
	s_waitcnt vmcnt(1)
	v_cmp_neq_f32_e32 vcc_lo, 0, v6
	s_waitcnt vmcnt(0)
	v_cmp_neq_f32_e64 s0, 0, v7
	s_delay_alu instid0(VALU_DEP_1)
	s_or_b32 vcc_lo, vcc_lo, s0
	v_add_co_ci_u32_e32 v3, vcc_lo, 0, v3, vcc_lo
.LBB8_112:
	s_or_b32 exec_lo, exec_lo, s2
	v_or_b32_e32 v16, 2, v8
	s_mov_b32 s1, exec_lo
	s_delay_alu instid0(VALU_DEP_1)
	v_cmpx_gt_i32_e64 s18, v16
	s_cbranch_execz .LBB8_118
; %bb.113:
	v_cmp_ne_u32_e32 vcc_lo, 1, v13
	s_cbranch_vccnz .LBB8_115
; %bb.114:
	v_add_co_u32 v6, vcc_lo, v4, 16
	v_add_co_ci_u32_e32 v7, vcc_lo, 0, v5, vcc_lo
	v_add_co_u32 v9, vcc_lo, v4, 20
	v_add_co_ci_u32_e32 v10, vcc_lo, 0, v5, vcc_lo
	s_cbranch_execz .LBB8_116
	s_branch .LBB8_117
.LBB8_115:
                                        ; implicit-def: $vgpr6_vgpr7
                                        ; implicit-def: $vgpr9_vgpr10
.LBB8_116:
	v_mad_u64_u32 v[6:7], null, v16, s22, 0
	s_delay_alu instid0(VALU_DEP_1) | instskip(NEXT) | instid1(VALU_DEP_1)
	v_mad_u64_u32 v[9:10], null, v16, s23, v[7:8]
	v_mov_b32_e32 v7, v9
	s_delay_alu instid0(VALU_DEP_1) | instskip(NEXT) | instid1(VALU_DEP_1)
	v_lshlrev_b64 v[6:7], 3, v[6:7]
	v_add_co_u32 v9, vcc_lo, v11, v6
	s_delay_alu instid0(VALU_DEP_2) | instskip(NEXT) | instid1(VALU_DEP_2)
	v_add_co_ci_u32_e32 v10, vcc_lo, v12, v7, vcc_lo
	v_add_co_u32 v6, vcc_lo, 0x600, v9
	s_delay_alu instid0(VALU_DEP_2)
	v_add_co_ci_u32_e32 v7, vcc_lo, 0, v10, vcc_lo
	v_add_co_u32 v9, vcc_lo, 0x604, v9
	v_add_co_ci_u32_e32 v10, vcc_lo, 0, v10, vcc_lo
.LBB8_117:
	global_load_b32 v6, v[6:7], off
	global_load_b32 v7, v[9:10], off
	s_waitcnt vmcnt(1)
	v_cmp_neq_f32_e32 vcc_lo, 0, v6
	s_waitcnt vmcnt(0)
	v_cmp_neq_f32_e64 s0, 0, v7
	s_delay_alu instid0(VALU_DEP_1)
	s_or_b32 vcc_lo, vcc_lo, s0
	v_add_co_ci_u32_e32 v3, vcc_lo, 0, v3, vcc_lo
.LBB8_118:
	s_or_b32 exec_lo, exec_lo, s1
	v_or_b32_e32 v8, 3, v8
	s_mov_b32 s1, exec_lo
	s_delay_alu instid0(VALU_DEP_1)
	v_cmpx_gt_i32_e64 s18, v8
	s_cbranch_execz .LBB8_124
; %bb.119:
	v_cmp_ne_u32_e32 vcc_lo, 1, v13
	s_cbranch_vccnz .LBB8_121
; %bb.120:
	v_add_co_u32 v6, vcc_lo, v4, 24
	v_add_co_ci_u32_e32 v7, vcc_lo, 0, v5, vcc_lo
	v_add_co_u32 v4, vcc_lo, v4, 28
	v_add_co_ci_u32_e32 v5, vcc_lo, 0, v5, vcc_lo
	s_cbranch_execz .LBB8_122
	s_branch .LBB8_123
.LBB8_121:
                                        ; implicit-def: $vgpr6_vgpr7
                                        ; implicit-def: $vgpr4_vgpr5
.LBB8_122:
	v_mad_u64_u32 v[4:5], null, v8, s22, 0
	s_delay_alu instid0(VALU_DEP_1) | instskip(NEXT) | instid1(VALU_DEP_1)
	v_mad_u64_u32 v[6:7], null, v8, s23, v[5:6]
	v_mov_b32_e32 v5, v6
	s_delay_alu instid0(VALU_DEP_1) | instskip(NEXT) | instid1(VALU_DEP_1)
	v_lshlrev_b64 v[4:5], 3, v[4:5]
	v_add_co_u32 v4, vcc_lo, v11, v4
	s_delay_alu instid0(VALU_DEP_2) | instskip(NEXT) | instid1(VALU_DEP_2)
	v_add_co_ci_u32_e32 v5, vcc_lo, v12, v5, vcc_lo
	v_add_co_u32 v6, vcc_lo, 0x600, v4
	s_delay_alu instid0(VALU_DEP_2)
	v_add_co_ci_u32_e32 v7, vcc_lo, 0, v5, vcc_lo
	v_add_co_u32 v4, vcc_lo, 0x604, v4
	v_add_co_ci_u32_e32 v5, vcc_lo, 0, v5, vcc_lo
.LBB8_123:
	global_load_b32 v6, v[6:7], off
	global_load_b32 v4, v[4:5], off
	s_waitcnt vmcnt(1)
	v_cmp_neq_f32_e32 vcc_lo, 0, v6
	s_waitcnt vmcnt(0)
	v_cmp_neq_f32_e64 s0, 0, v4
	s_delay_alu instid0(VALU_DEP_1)
	s_or_b32 vcc_lo, vcc_lo, s0
	v_add_co_ci_u32_e32 v3, vcc_lo, 0, v3, vcc_lo
.LBB8_124:
	s_or_b32 exec_lo, exec_lo, s1
.LBB8_125:
	s_delay_alu instid0(SALU_CYCLE_1)
	s_or_b32 exec_lo, exec_lo, s3
.LBB8_126:
	v_lshlrev_b32_e32 v4, 2, v14
	s_mov_b32 s0, exec_lo
	s_delay_alu instid0(VALU_DEP_1) | instskip(NEXT) | instid1(VALU_DEP_1)
	v_and_or_b32 v5, 0x1fffff00, v4, v15
	v_lshlrev_b32_e32 v5, 2, v5
	ds_store_2addr_stride64_b32 v5, v0, v1 offset1:1
	ds_store_2addr_stride64_b32 v5, v2, v3 offset0:2 offset1:3
	s_waitcnt lgkmcnt(0)
	s_barrier
	buffer_gl0_inv
	v_cmpx_gt_u32_e32 0x100, v14
	s_cbranch_execz .LBB8_129
; %bb.127:
	ds_load_2addr_stride64_b32 v[0:1], v4 offset1:4
	ds_load_2addr_stride64_b32 v[2:3], v4 offset0:8 offset1:12
	ds_load_2addr_stride64_b32 v[5:6], v4 offset0:16 offset1:20
	;; [unrolled: 1-line block ×3, first 2 shown]
	s_waitcnt lgkmcnt(3)
	v_add_nc_u32_e32 v9, v0, v1
	ds_load_2addr_stride64_b32 v[0:1], v4 offset0:32 offset1:36
	s_waitcnt lgkmcnt(3)
	v_add3_u32 v9, v9, v2, v3
	ds_load_2addr_stride64_b32 v[2:3], v4 offset0:40 offset1:44
	s_waitcnt lgkmcnt(3)
	v_add3_u32 v9, v9, v5, v6
	;; [unrolled: 3-line block ×4, first 2 shown]
	s_waitcnt lgkmcnt(2)
	s_delay_alu instid0(VALU_DEP_1) | instskip(SKIP_1) | instid1(VALU_DEP_1)
	v_add3_u32 v0, v0, v2, v3
	s_waitcnt lgkmcnt(1)
	v_add3_u32 v1, v0, v5, v6
	v_add_nc_u32_e32 v0, s5, v14
	s_waitcnt lgkmcnt(0)
	s_delay_alu instid0(VALU_DEP_2) | instskip(NEXT) | instid1(VALU_DEP_2)
	v_add3_u32 v2, v1, v7, v8
	v_cmp_gt_i32_e32 vcc_lo, s17, v0
	ds_store_b32 v4, v2
	s_and_b32 exec_lo, exec_lo, vcc_lo
	s_cbranch_execz .LBB8_129
; %bb.128:
	v_ashrrev_i32_e32 v1, 31, v0
	s_delay_alu instid0(VALU_DEP_1) | instskip(NEXT) | instid1(VALU_DEP_1)
	v_lshlrev_b64 v[0:1], 2, v[0:1]
	v_add_co_u32 v0, vcc_lo, s6, v0
	s_delay_alu instid0(VALU_DEP_2)
	v_add_co_ci_u32_e32 v1, vcc_lo, s7, v1, vcc_lo
	global_store_b32 v[0:1], v2, off
.LBB8_129:
	s_nop 0
	s_sendmsg sendmsg(MSG_DEALLOC_VGPRS)
	s_endpgm
	.section	.rodata,"a",@progbits
	.p2align	6, 0x0
	.amdhsa_kernel _ZN9rocsparseL14nnz_kernel_rowILi64ELi16Eii21rocsparse_complex_numIfEEEv16rocsparse_order_T2_S4_PKT3_lPT1_
		.amdhsa_group_segment_fixed_size 16384
		.amdhsa_private_segment_fixed_size 0
		.amdhsa_kernarg_size 296
		.amdhsa_user_sgpr_count 15
		.amdhsa_user_sgpr_dispatch_ptr 0
		.amdhsa_user_sgpr_queue_ptr 0
		.amdhsa_user_sgpr_kernarg_segment_ptr 1
		.amdhsa_user_sgpr_dispatch_id 0
		.amdhsa_user_sgpr_private_segment_size 0
		.amdhsa_wavefront_size32 1
		.amdhsa_uses_dynamic_stack 0
		.amdhsa_enable_private_segment 0
		.amdhsa_system_sgpr_workgroup_id_x 1
		.amdhsa_system_sgpr_workgroup_id_y 0
		.amdhsa_system_sgpr_workgroup_id_z 0
		.amdhsa_system_sgpr_workgroup_info 0
		.amdhsa_system_vgpr_workitem_id 1
		.amdhsa_next_free_vgpr 36
		.amdhsa_next_free_sgpr 24
		.amdhsa_reserve_vcc 1
		.amdhsa_float_round_mode_32 0
		.amdhsa_float_round_mode_16_64 0
		.amdhsa_float_denorm_mode_32 3
		.amdhsa_float_denorm_mode_16_64 3
		.amdhsa_dx10_clamp 1
		.amdhsa_ieee_mode 1
		.amdhsa_fp16_overflow 0
		.amdhsa_workgroup_processor_mode 1
		.amdhsa_memory_ordered 1
		.amdhsa_forward_progress 0
		.amdhsa_shared_vgpr_count 0
		.amdhsa_exception_fp_ieee_invalid_op 0
		.amdhsa_exception_fp_denorm_src 0
		.amdhsa_exception_fp_ieee_div_zero 0
		.amdhsa_exception_fp_ieee_overflow 0
		.amdhsa_exception_fp_ieee_underflow 0
		.amdhsa_exception_fp_ieee_inexact 0
		.amdhsa_exception_int_div_zero 0
	.end_amdhsa_kernel
	.section	.text._ZN9rocsparseL14nnz_kernel_rowILi64ELi16Eii21rocsparse_complex_numIfEEEv16rocsparse_order_T2_S4_PKT3_lPT1_,"axG",@progbits,_ZN9rocsparseL14nnz_kernel_rowILi64ELi16Eii21rocsparse_complex_numIfEEEv16rocsparse_order_T2_S4_PKT3_lPT1_,comdat
.Lfunc_end8:
	.size	_ZN9rocsparseL14nnz_kernel_rowILi64ELi16Eii21rocsparse_complex_numIfEEEv16rocsparse_order_T2_S4_PKT3_lPT1_, .Lfunc_end8-_ZN9rocsparseL14nnz_kernel_rowILi64ELi16Eii21rocsparse_complex_numIfEEEv16rocsparse_order_T2_S4_PKT3_lPT1_
                                        ; -- End function
	.section	.AMDGPU.csdata,"",@progbits
; Kernel info:
; codeLenInByte = 6608
; NumSgprs: 26
; NumVgprs: 36
; ScratchSize: 0
; MemoryBound: 0
; FloatMode: 240
; IeeeMode: 1
; LDSByteSize: 16384 bytes/workgroup (compile time only)
; SGPRBlocks: 3
; VGPRBlocks: 4
; NumSGPRsForWavesPerEU: 26
; NumVGPRsForWavesPerEU: 36
; Occupancy: 16
; WaveLimiterHint : 0
; COMPUTE_PGM_RSRC2:SCRATCH_EN: 0
; COMPUTE_PGM_RSRC2:USER_SGPR: 15
; COMPUTE_PGM_RSRC2:TRAP_HANDLER: 0
; COMPUTE_PGM_RSRC2:TGID_X_EN: 1
; COMPUTE_PGM_RSRC2:TGID_Y_EN: 0
; COMPUTE_PGM_RSRC2:TGID_Z_EN: 0
; COMPUTE_PGM_RSRC2:TIDIG_COMP_CNT: 1
	.section	.text._ZN9rocsparseL14nnz_kernel_colILi256Eii21rocsparse_complex_numIfEEEv16rocsparse_order_T1_S4_PKT2_lPT0_,"axG",@progbits,_ZN9rocsparseL14nnz_kernel_colILi256Eii21rocsparse_complex_numIfEEEv16rocsparse_order_T1_S4_PKT2_lPT0_,comdat
	.globl	_ZN9rocsparseL14nnz_kernel_colILi256Eii21rocsparse_complex_numIfEEEv16rocsparse_order_T1_S4_PKT2_lPT0_ ; -- Begin function _ZN9rocsparseL14nnz_kernel_colILi256Eii21rocsparse_complex_numIfEEEv16rocsparse_order_T1_S4_PKT2_lPT0_
	.p2align	8
	.type	_ZN9rocsparseL14nnz_kernel_colILi256Eii21rocsparse_complex_numIfEEEv16rocsparse_order_T1_S4_PKT2_lPT0_,@function
_ZN9rocsparseL14nnz_kernel_colILi256Eii21rocsparse_complex_numIfEEEv16rocsparse_order_T1_S4_PKT2_lPT0_: ; @_ZN9rocsparseL14nnz_kernel_colILi256Eii21rocsparse_complex_numIfEEEv16rocsparse_order_T1_S4_PKT2_lPT0_
; %bb.0:
	s_clause 0x1
	s_load_b64 s[10:11], s[0:1], 0x0
	s_load_b128 s[4:7], s[0:1], 0x10
	s_mov_b32 s8, s15
	s_waitcnt lgkmcnt(0)
	s_ashr_i32 s2, s11, 31
	s_delay_alu instid0(SALU_CYCLE_1) | instskip(NEXT) | instid1(SALU_CYCLE_1)
	s_lshr_b32 s2, s2, 24
	s_add_i32 s2, s11, s2
	s_delay_alu instid0(SALU_CYCLE_1)
	s_and_b32 s12, s2, 0xffffff00
	s_cmp_eq_u32 s10, 1
	s_cbranch_scc1 .LBB9_6
; %bb.1:
	v_mov_b32_e32 v3, 0
	s_cmpk_lt_i32 s11, 0x100
	s_cbranch_scc1 .LBB9_7
; %bb.2:
	v_mad_u64_u32 v[1:2], null, s6, v0, 0
	s_ashr_i32 s9, s8, 31
	s_delay_alu instid0(SALU_CYCLE_1) | instskip(NEXT) | instid1(SALU_CYCLE_1)
	s_lshl_b64 s[2:3], s[8:9], 3
	s_add_u32 s2, s4, s2
	s_addc_u32 s3, s5, s3
	s_delay_alu instid0(VALU_DEP_1) | instskip(SKIP_1) | instid1(VALU_DEP_1)
	v_mad_u64_u32 v[3:4], null, s7, v0, v[2:3]
	s_lshl_b64 s[14:15], s[6:7], 11
	v_dual_mov_b32 v2, v3 :: v_dual_mov_b32 v3, 0
	s_delay_alu instid0(VALU_DEP_1) | instskip(NEXT) | instid1(VALU_DEP_1)
	v_lshlrev_b64 v[1:2], 3, v[1:2]
	v_add_co_u32 v1, vcc_lo, s2, v1
	s_delay_alu instid0(VALU_DEP_2) | instskip(SKIP_1) | instid1(VALU_DEP_2)
	v_add_co_ci_u32_e32 v2, vcc_lo, s3, v2, vcc_lo
	s_mov_b32 s3, 0
	v_add_co_u32 v1, vcc_lo, v1, 4
	s_delay_alu instid0(VALU_DEP_2)
	v_add_co_ci_u32_e32 v2, vcc_lo, 0, v2, vcc_lo
	s_branch .LBB9_4
	.p2align	6
.LBB9_3:                                ;   in Loop: Header=BB9_4 Depth=1
	s_or_b32 exec_lo, exec_lo, s9
	v_add_co_u32 v1, vcc_lo, v1, s14
	v_add_co_ci_u32_e32 v2, vcc_lo, s15, v2, vcc_lo
	s_addk_i32 s3, 0x100
	s_delay_alu instid0(SALU_CYCLE_1)
	s_cmp_ge_i32 s3, s12
	s_cbranch_scc1 .LBB9_7
.LBB9_4:                                ; =>This Inner Loop Header: Depth=1
	v_add_nc_u32_e32 v4, s3, v0
	s_mov_b32 s9, exec_lo
	s_delay_alu instid0(VALU_DEP_1)
	v_cmpx_gt_i32_e64 s11, v4
	s_cbranch_execz .LBB9_3
; %bb.5:                                ;   in Loop: Header=BB9_4 Depth=1
	global_load_b64 v[4:5], v[1:2], off offset:-4
	s_waitcnt vmcnt(0)
	v_cmp_neq_f32_e32 vcc_lo, 0, v4
	v_cmp_neq_f32_e64 s2, 0, v5
	s_delay_alu instid0(VALU_DEP_1)
	s_or_b32 vcc_lo, vcc_lo, s2
	v_add_co_ci_u32_e32 v3, vcc_lo, 0, v3, vcc_lo
	s_branch .LBB9_3
.LBB9_6:
	s_mov_b32 s10, 0
                                        ; implicit-def: $vgpr3
                                        ; implicit-def: $vgpr1_vgpr2
	s_cbranch_execnz .LBB9_10
	s_branch .LBB9_16
.LBB9_7:
	v_add_nc_u32_e32 v4, s12, v0
	s_mov_b32 s2, 0
	s_mov_b32 s10, 0
	s_mov_b32 s3, exec_lo
                                        ; implicit-def: $vgpr1_vgpr2
	s_delay_alu instid0(VALU_DEP_1)
	v_cmpx_gt_i32_e64 s11, v4
	s_xor_b32 s3, exec_lo, s3
	s_cbranch_execz .LBB9_9
; %bb.8:
	v_ashrrev_i32_e32 v5, 31, v4
	v_mul_lo_u32 v6, v4, s7
	v_mad_u64_u32 v[1:2], null, v4, s6, 0
	s_ashr_i32 s9, s8, 31
	s_delay_alu instid0(VALU_DEP_3) | instskip(SKIP_4) | instid1(VALU_DEP_1)
	v_mul_lo_u32 v4, v5, s6
	s_lshl_b64 s[14:15], s[8:9], 3
	s_mov_b32 s10, exec_lo
	s_add_u32 s9, s14, s4
	s_addc_u32 s13, s15, s5
	v_add3_u32 v2, v2, v6, v4
	s_delay_alu instid0(VALU_DEP_1) | instskip(NEXT) | instid1(VALU_DEP_1)
	v_lshlrev_b64 v[1:2], 3, v[1:2]
	v_add_co_u32 v1, vcc_lo, s9, v1
	s_delay_alu instid0(VALU_DEP_2)
	v_add_co_ci_u32_e32 v2, vcc_lo, s13, v2, vcc_lo
.LBB9_9:
	s_or_b32 exec_lo, exec_lo, s3
	s_delay_alu instid0(SALU_CYCLE_1)
	s_and_b32 vcc_lo, exec_lo, s2
	s_cbranch_vccz .LBB9_16
.LBB9_10:
	v_cmp_gt_i32_e32 vcc_lo, s11, v0
	s_mul_i32 s2, s8, s7
	s_mul_hi_u32 s3, s8, s6
	s_ashr_i32 s7, s8, 31
	s_add_i32 s2, s3, s2
	v_cndmask_b32_e32 v1, 0, v0, vcc_lo
	s_mul_i32 s7, s7, s6
	v_mov_b32_e32 v3, 0
	s_add_i32 s7, s2, s7
	s_mul_i32 s6, s8, s6
	v_lshlrev_b32_e32 v4, 3, v1
	s_cmpk_lt_i32 s11, 0x100
	s_mov_b32 s9, 0
	s_cbranch_scc1 .LBB9_13
; %bb.11:
	s_lshl_b64 s[2:3], s[6:7], 3
	v_mov_b32_e32 v3, 0
	s_add_u32 s2, s4, s2
	s_addc_u32 s3, s5, s3
	v_add_co_u32 v1, s2, s2, v4
	s_delay_alu instid0(VALU_DEP_1) | instskip(NEXT) | instid1(VALU_DEP_2)
	v_add_co_ci_u32_e64 v2, null, s3, 0, s2
	v_add_co_u32 v1, vcc_lo, v1, 4
	s_delay_alu instid0(VALU_DEP_2)
	v_add_co_ci_u32_e32 v2, vcc_lo, 0, v2, vcc_lo
.LBB9_12:                               ; =>This Inner Loop Header: Depth=1
	global_load_b64 v[5:6], v[1:2], off offset:-4
	v_add_co_u32 v1, vcc_lo, 0x800, v1
	v_add_co_ci_u32_e32 v2, vcc_lo, 0, v2, vcc_lo
	s_addk_i32 s9, 0x100
	s_waitcnt vmcnt(0)
	v_cmp_neq_f32_e64 s2, 0, v5
	v_cmp_neq_f32_e64 s3, 0, v6
	s_delay_alu instid0(VALU_DEP_1)
	s_or_b32 vcc_lo, s2, s3
	s_cmp_ge_i32 s9, s12
	v_add_co_ci_u32_e32 v3, vcc_lo, 0, v3, vcc_lo
	s_cbranch_scc0 .LBB9_12
.LBB9_13:
	v_add_nc_u32_e32 v1, s12, v0
	s_delay_alu instid0(VALU_DEP_1)
	v_cmp_gt_i32_e32 vcc_lo, s11, v1
                                        ; implicit-def: $vgpr1_vgpr2
	s_and_saveexec_b32 s2, vcc_lo
; %bb.14:
	s_lshl_b64 s[6:7], s[6:7], 3
	s_delay_alu instid0(SALU_CYCLE_1) | instskip(SKIP_2) | instid1(SALU_CYCLE_1)
	s_add_u32 s3, s4, s6
	s_addc_u32 s6, s5, s7
	s_ashr_i32 s13, s12, 31
	s_lshl_b64 s[4:5], s[12:13], 3
	s_delay_alu instid0(SALU_CYCLE_1) | instskip(SKIP_2) | instid1(VALU_DEP_1)
	s_add_u32 s3, s4, s3
	s_addc_u32 s4, s5, s6
	v_add_co_u32 v1, s3, s3, v4
	v_add_co_ci_u32_e64 v2, null, s4, 0, s3
	s_or_b32 s10, s10, exec_lo
; %bb.15:
	s_or_b32 exec_lo, exec_lo, s2
.LBB9_16:
	s_and_saveexec_b32 s3, s10
	s_cbranch_execz .LBB9_18
; %bb.17:
	global_load_b64 v[1:2], v[1:2], off
	s_waitcnt vmcnt(0)
	v_cmp_neq_f32_e32 vcc_lo, 0, v1
	v_cmp_neq_f32_e64 s2, 0, v2
	s_delay_alu instid0(VALU_DEP_1)
	s_or_b32 vcc_lo, vcc_lo, s2
	v_add_co_ci_u32_e32 v3, vcc_lo, 0, v3, vcc_lo
.LBB9_18:
	s_or_b32 exec_lo, exec_lo, s3
	v_lshlrev_b32_e32 v1, 2, v0
	v_cmp_eq_u32_e32 vcc_lo, 0, v0
	s_cmpk_lt_i32 s11, 0x100
	s_mov_b32 s2, -1
	ds_store_b32 v1, v3
	s_waitcnt lgkmcnt(0)
	s_cbranch_scc0 .LBB9_29
; %bb.19:
	s_cmp_gt_i32 s11, 1
	s_mov_b32 s4, 1
	s_cselect_b32 s2, -1, 0
	s_barrier
	s_and_b32 s3, vcc_lo, s2
	buffer_gl0_inv
	s_and_saveexec_b32 s2, s3
	s_cbranch_execz .LBB9_28
; %bb.20:
	v_mov_b32_e32 v2, 0
	s_add_i32 s5, s11, -2
	s_add_i32 s3, s11, -1
	s_cmp_lt_u32 s5, 7
	ds_load_b32 v2, v2
	s_cbranch_scc1 .LBB9_24
; %bb.21:
	s_and_b32 s4, s3, -8
	s_mov_b32 s6, 0
	s_mov_b32 s5, 4
	.p2align	6
.LBB9_22:                               ; =>This Inner Loop Header: Depth=1
	s_delay_alu instid0(SALU_CYCLE_1)
	v_mov_b32_e32 v9, s5
	s_mov_b32 s7, s6
	s_add_i32 s6, s6, 8
	s_add_i32 s5, s5, 32
	s_cmp_lg_u32 s4, s6
	ds_load_2addr_b32 v[3:4], v9 offset1:1
	ds_load_2addr_b32 v[5:6], v9 offset0:2 offset1:3
	ds_load_2addr_b32 v[7:8], v9 offset0:4 offset1:5
	;; [unrolled: 1-line block ×3, first 2 shown]
	s_waitcnt lgkmcnt(3)
	v_add_nc_u32_e32 v2, v2, v3
	s_delay_alu instid0(VALU_DEP_1) | instskip(SKIP_1) | instid1(VALU_DEP_1)
	v_add_nc_u32_e32 v2, v2, v4
	s_waitcnt lgkmcnt(2)
	v_add_nc_u32_e32 v2, v2, v5
	s_delay_alu instid0(VALU_DEP_1) | instskip(SKIP_1) | instid1(VALU_DEP_1)
	v_add_nc_u32_e32 v2, v2, v6
	;; [unrolled: 4-line block ×3, first 2 shown]
	s_waitcnt lgkmcnt(0)
	v_add_nc_u32_e32 v2, v2, v9
	s_delay_alu instid0(VALU_DEP_1)
	v_add_nc_u32_e32 v2, v2, v10
	s_cbranch_scc1 .LBB9_22
; %bb.23:
	s_add_i32 s4, s7, 9
.LBB9_24:
	s_and_b32 s3, s3, 7
	s_delay_alu instid0(SALU_CYCLE_1)
	s_cmp_eq_u32 s3, 0
	s_cbranch_scc1 .LBB9_27
; %bb.25:
	s_lshl_b32 s4, s4, 2
.LBB9_26:                               ; =>This Inner Loop Header: Depth=1
	s_delay_alu instid0(SALU_CYCLE_1)
	v_mov_b32_e32 v3, s4
	s_add_i32 s3, s3, -1
	s_add_i32 s4, s4, 4
	s_cmp_lg_u32 s3, 0
	ds_load_b32 v3, v3
	s_waitcnt lgkmcnt(0)
	v_add_nc_u32_e32 v2, v2, v3
	s_cbranch_scc1 .LBB9_26
.LBB9_27:
	v_mov_b32_e32 v3, 0
	s_waitcnt lgkmcnt(0)
	ds_store_b32 v3, v2
.LBB9_28:
	s_or_b32 exec_lo, exec_lo, s2
	s_mov_b32 s2, 0
	s_waitcnt lgkmcnt(0)
	s_barrier
.LBB9_29:
	s_and_b32 vcc_lo, exec_lo, s2
	s_cbranch_vccz .LBB9_47
; %bb.30:
	s_mov_b32 s2, exec_lo
	s_barrier
	buffer_gl0_inv
	v_cmpx_gt_u32_e32 0x80, v0
	s_cbranch_execz .LBB9_32
; %bb.31:
	ds_load_2addr_stride64_b32 v[2:3], v1 offset1:2
	s_waitcnt lgkmcnt(0)
	v_add_nc_u32_e32 v2, v2, v3
	ds_store_b32 v1, v2
.LBB9_32:
	s_or_b32 exec_lo, exec_lo, s2
	s_delay_alu instid0(SALU_CYCLE_1)
	s_mov_b32 s2, exec_lo
	s_waitcnt lgkmcnt(0)
	s_barrier
	buffer_gl0_inv
	v_cmpx_gt_u32_e32 64, v0
	s_cbranch_execz .LBB9_34
; %bb.33:
	ds_load_2addr_stride64_b32 v[2:3], v1 offset1:1
	s_waitcnt lgkmcnt(0)
	v_add_nc_u32_e32 v2, v2, v3
	ds_store_b32 v1, v2
.LBB9_34:
	s_or_b32 exec_lo, exec_lo, s2
	s_delay_alu instid0(SALU_CYCLE_1)
	s_mov_b32 s2, exec_lo
	s_waitcnt lgkmcnt(0)
	s_barrier
	buffer_gl0_inv
	v_cmpx_gt_u32_e32 32, v0
	s_cbranch_execz .LBB9_36
; %bb.35:
	ds_load_2addr_b32 v[2:3], v1 offset1:32
	s_waitcnt lgkmcnt(0)
	v_add_nc_u32_e32 v2, v2, v3
	ds_store_b32 v1, v2
.LBB9_36:
	s_or_b32 exec_lo, exec_lo, s2
	s_delay_alu instid0(SALU_CYCLE_1)
	s_mov_b32 s2, exec_lo
	s_waitcnt lgkmcnt(0)
	s_barrier
	buffer_gl0_inv
	v_cmpx_gt_u32_e32 16, v0
	s_cbranch_execz .LBB9_38
; %bb.37:
	ds_load_2addr_b32 v[2:3], v1 offset1:16
	s_waitcnt lgkmcnt(0)
	v_add_nc_u32_e32 v2, v2, v3
	ds_store_b32 v1, v2
.LBB9_38:
	;; [unrolled: 14-line block ×5, first 2 shown]
	s_or_b32 exec_lo, exec_lo, s2
	s_delay_alu instid0(SALU_CYCLE_1)
	s_mov_b32 s2, exec_lo
	s_waitcnt lgkmcnt(0)
	s_barrier
	buffer_gl0_inv
	v_cmpx_eq_u32_e32 0, v0
	s_cbranch_execz .LBB9_46
; %bb.45:
	v_mov_b32_e32 v3, 0
	ds_load_b64 v[1:2], v3
	s_waitcnt lgkmcnt(0)
	v_add_nc_u32_e32 v1, v1, v2
	ds_store_b32 v3, v1
.LBB9_46:
	s_or_b32 exec_lo, exec_lo, s2
	s_waitcnt lgkmcnt(0)
	s_barrier
.LBB9_47:
	buffer_gl0_inv
	s_mov_b32 s2, exec_lo
	v_cmpx_eq_u32_e32 0, v0
	s_cbranch_execz .LBB9_49
; %bb.48:
	v_mov_b32_e32 v0, 0
	s_load_b64 s[0:1], s[0:1], 0x20
	s_ashr_i32 s9, s8, 31
	s_delay_alu instid0(SALU_CYCLE_1)
	s_lshl_b64 s[2:3], s[8:9], 2
	ds_load_b32 v1, v0
	s_waitcnt lgkmcnt(0)
	s_add_u32 s0, s0, s2
	s_addc_u32 s1, s1, s3
	global_store_b32 v0, v1, s[0:1]
.LBB9_49:
	s_nop 0
	s_sendmsg sendmsg(MSG_DEALLOC_VGPRS)
	s_endpgm
	.section	.rodata,"a",@progbits
	.p2align	6, 0x0
	.amdhsa_kernel _ZN9rocsparseL14nnz_kernel_colILi256Eii21rocsparse_complex_numIfEEEv16rocsparse_order_T1_S4_PKT2_lPT0_
		.amdhsa_group_segment_fixed_size 1024
		.amdhsa_private_segment_fixed_size 0
		.amdhsa_kernarg_size 40
		.amdhsa_user_sgpr_count 15
		.amdhsa_user_sgpr_dispatch_ptr 0
		.amdhsa_user_sgpr_queue_ptr 0
		.amdhsa_user_sgpr_kernarg_segment_ptr 1
		.amdhsa_user_sgpr_dispatch_id 0
		.amdhsa_user_sgpr_private_segment_size 0
		.amdhsa_wavefront_size32 1
		.amdhsa_uses_dynamic_stack 0
		.amdhsa_enable_private_segment 0
		.amdhsa_system_sgpr_workgroup_id_x 1
		.amdhsa_system_sgpr_workgroup_id_y 0
		.amdhsa_system_sgpr_workgroup_id_z 0
		.amdhsa_system_sgpr_workgroup_info 0
		.amdhsa_system_vgpr_workitem_id 0
		.amdhsa_next_free_vgpr 11
		.amdhsa_next_free_sgpr 16
		.amdhsa_reserve_vcc 1
		.amdhsa_float_round_mode_32 0
		.amdhsa_float_round_mode_16_64 0
		.amdhsa_float_denorm_mode_32 3
		.amdhsa_float_denorm_mode_16_64 3
		.amdhsa_dx10_clamp 1
		.amdhsa_ieee_mode 1
		.amdhsa_fp16_overflow 0
		.amdhsa_workgroup_processor_mode 1
		.amdhsa_memory_ordered 1
		.amdhsa_forward_progress 0
		.amdhsa_shared_vgpr_count 0
		.amdhsa_exception_fp_ieee_invalid_op 0
		.amdhsa_exception_fp_denorm_src 0
		.amdhsa_exception_fp_ieee_div_zero 0
		.amdhsa_exception_fp_ieee_overflow 0
		.amdhsa_exception_fp_ieee_underflow 0
		.amdhsa_exception_fp_ieee_inexact 0
		.amdhsa_exception_int_div_zero 0
	.end_amdhsa_kernel
	.section	.text._ZN9rocsparseL14nnz_kernel_colILi256Eii21rocsparse_complex_numIfEEEv16rocsparse_order_T1_S4_PKT2_lPT0_,"axG",@progbits,_ZN9rocsparseL14nnz_kernel_colILi256Eii21rocsparse_complex_numIfEEEv16rocsparse_order_T1_S4_PKT2_lPT0_,comdat
.Lfunc_end9:
	.size	_ZN9rocsparseL14nnz_kernel_colILi256Eii21rocsparse_complex_numIfEEEv16rocsparse_order_T1_S4_PKT2_lPT0_, .Lfunc_end9-_ZN9rocsparseL14nnz_kernel_colILi256Eii21rocsparse_complex_numIfEEEv16rocsparse_order_T1_S4_PKT2_lPT0_
                                        ; -- End function
	.section	.AMDGPU.csdata,"",@progbits
; Kernel info:
; codeLenInByte = 1636
; NumSgprs: 18
; NumVgprs: 11
; ScratchSize: 0
; MemoryBound: 0
; FloatMode: 240
; IeeeMode: 1
; LDSByteSize: 1024 bytes/workgroup (compile time only)
; SGPRBlocks: 2
; VGPRBlocks: 1
; NumSGPRsForWavesPerEU: 18
; NumVGPRsForWavesPerEU: 11
; Occupancy: 16
; WaveLimiterHint : 0
; COMPUTE_PGM_RSRC2:SCRATCH_EN: 0
; COMPUTE_PGM_RSRC2:USER_SGPR: 15
; COMPUTE_PGM_RSRC2:TRAP_HANDLER: 0
; COMPUTE_PGM_RSRC2:TGID_X_EN: 1
; COMPUTE_PGM_RSRC2:TGID_Y_EN: 0
; COMPUTE_PGM_RSRC2:TGID_Z_EN: 0
; COMPUTE_PGM_RSRC2:TIDIG_COMP_CNT: 0
	.section	.text._ZN9rocsparseL14nnz_kernel_rowILi64ELi16Eii21rocsparse_complex_numIdEEEv16rocsparse_order_T2_S4_PKT3_lPT1_,"axG",@progbits,_ZN9rocsparseL14nnz_kernel_rowILi64ELi16Eii21rocsparse_complex_numIdEEEv16rocsparse_order_T2_S4_PKT3_lPT1_,comdat
	.globl	_ZN9rocsparseL14nnz_kernel_rowILi64ELi16Eii21rocsparse_complex_numIdEEEv16rocsparse_order_T2_S4_PKT3_lPT1_ ; -- Begin function _ZN9rocsparseL14nnz_kernel_rowILi64ELi16Eii21rocsparse_complex_numIdEEEv16rocsparse_order_T2_S4_PKT3_lPT1_
	.p2align	8
	.type	_ZN9rocsparseL14nnz_kernel_rowILi64ELi16Eii21rocsparse_complex_numIdEEEv16rocsparse_order_T2_S4_PKT3_lPT1_,@function
_ZN9rocsparseL14nnz_kernel_rowILi64ELi16Eii21rocsparse_complex_numIdEEEv16rocsparse_order_T2_S4_PKT3_lPT1_: ; @_ZN9rocsparseL14nnz_kernel_rowILi64ELi16Eii21rocsparse_complex_numIdEEEv16rocsparse_order_T2_S4_PKT3_lPT1_
; %bb.0:
	s_clause 0x1
	s_load_b32 s2, s[0:1], 0x34
	s_load_b256 s[16:23], s[0:1], 0x0
	s_mov_b32 s12, 0
	s_lshl_b32 s11, s15, 8
	s_mov_b32 s13, s12
	s_mov_b32 s14, s12
	;; [unrolled: 1-line block ×3, first 2 shown]
	v_and_b32_e32 v1, 0x3ff, v0
	v_bfe_u32 v0, v0, 10, 10
	s_load_b64 s[24:25], s[0:1], 0x20
	s_mov_b32 s26, exec_lo
	s_waitcnt lgkmcnt(0)
	s_and_b32 s2, s2, 0xffff
	s_ashr_i32 s0, s18, 31
	v_mad_u32_u24 v14, v0, s2, v1
	s_lshr_b32 s0, s0, 26
	s_delay_alu instid0(SALU_CYCLE_1) | instskip(NEXT) | instid1(VALU_DEP_1)
	s_add_i32 s19, s18, s0
	v_lshrrev_b32_e32 v0, 4, v14
	v_and_b32_e32 v15, 63, v14
	s_and_not1_b32 s19, s19, 63
	s_delay_alu instid0(VALU_DEP_2) | instskip(SKIP_1) | instid1(VALU_DEP_3)
	v_and_b32_e32 v8, 0x7ffffc, v0
	v_dual_mov_b32 v0, s12 :: v_dual_mov_b32 v1, s13
	v_or_b32_e32 v10, s11, v15
	v_dual_mov_b32 v2, s14 :: v_dual_mov_b32 v3, s15
	s_delay_alu instid0(VALU_DEP_2)
	v_or_b32_e32 v18, 64, v10
	v_or_b32_e32 v17, 0x80, v10
	;; [unrolled: 1-line block ×3, first 2 shown]
	v_cmpx_gt_i32_e64 s19, v8
	s_cbranch_execz .LBB10_28
; %bb.1:
	v_lshrrev_b32_e32 v27, 6, v14
	v_add_nc_u32_e32 v0, s11, v15
	v_cmp_gt_i32_e64 s0, s17, v10
	v_cmp_gt_i32_e64 s1, s17, v18
	;; [unrolled: 1-line block ×3, first 2 shown]
	v_lshlrev_b32_e32 v28, 2, v27
	v_ashrrev_i32_e32 v1, 31, v0
	v_cmp_gt_i32_e64 s3, s17, v16
	s_cmp_lg_u32 s16, 1
	s_delay_alu instid0(VALU_DEP_3) | instskip(NEXT) | instid1(VALU_DEP_3)
	v_or_b32_e32 v9, 3, v28
	v_mul_lo_u32 v24, s22, v1
	v_lshlrev_b64 v[6:7], 4, v[0:1]
	s_delay_alu instid0(VALU_DEP_3) | instskip(NEXT) | instid1(VALU_DEP_1)
	v_mad_u64_u32 v[2:3], null, s22, v9, 0
	v_mov_b32_e32 v1, v3
	v_or_b32_e32 v31, 2, v28
	s_delay_alu instid0(VALU_DEP_2) | instskip(NEXT) | instid1(VALU_DEP_2)
	v_mad_u64_u32 v[11:12], null, s23, v9, v[1:2]
	v_mad_u64_u32 v[21:22], null, s22, v31, 0
	s_delay_alu instid0(VALU_DEP_2) | instskip(NEXT) | instid1(VALU_DEP_2)
	v_mov_b32_e32 v3, v11
	v_mov_b32_e32 v1, v22
	v_add_nc_u32_e32 v23, 64, v0
	v_mul_lo_u32 v13, s23, v0
	v_mad_u64_u32 v[4:5], null, s22, v0, 0
	v_add_nc_u32_e32 v30, 0x80, v0
	s_delay_alu instid0(VALU_DEP_4) | instskip(SKIP_2) | instid1(VALU_DEP_4)
	v_ashrrev_i32_e32 v25, 31, v23
	v_mul_lo_u32 v26, s23, v23
	v_mad_u64_u32 v[19:20], null, s22, v23, 0
	v_ashrrev_i32_e32 v32, 31, v30
	s_delay_alu instid0(VALU_DEP_4) | instskip(SKIP_2) | instid1(VALU_DEP_2)
	v_mul_lo_u32 v9, s22, v25
	v_add3_u32 v5, v5, v24, v13
	v_mad_u64_u32 v[23:24], null, s22, v28, s[22:23]
	v_lshlrev_b64 v[4:5], 4, v[4:5]
	s_delay_alu instid0(VALU_DEP_4)
	v_add3_u32 v20, v20, v9, v26
	v_mad_u64_u32 v[25:26], null, s23, v31, v[1:2]
	v_and_b32_e32 v29, 0x7ffffc0, v14
	v_lshlrev_b64 v[1:2], 4, v[2:3]
	v_mul_lo_u32 v26, s22, v32
	v_mov_b32_e32 v3, v24
	v_mul_lo_u32 v31, s23, v30
	v_mov_b32_e32 v22, v25
	v_add_co_u32 v9, vcc_lo, v4, v29
	v_add_co_ci_u32_e32 v11, vcc_lo, 0, v5, vcc_lo
	v_add_co_u32 v12, vcc_lo, v1, v6
	v_add_co_ci_u32_e32 v13, vcc_lo, v2, v7, vcc_lo
	v_lshlrev_b64 v[1:2], 4, v[19:20]
	v_mad_u64_u32 v[4:5], null, s22, v30, 0
	s_delay_alu instid0(VALU_DEP_2) | instskip(NEXT) | instid1(VALU_DEP_3)
	v_add_co_u32 v19, vcc_lo, v1, v29
	v_add_co_ci_u32_e32 v20, vcc_lo, 0, v2, vcc_lo
	s_delay_alu instid0(VALU_DEP_3) | instskip(SKIP_4) | instid1(VALU_DEP_4)
	v_mad_u64_u32 v[24:25], null, s23, v28, v[3:4]
	v_add_nc_u32_e32 v28, 0xc0, v0
	v_lshlrev_b64 v[2:3], 4, v[21:22]
	v_add3_u32 v5, v5, v26, v31
	v_mad_u64_u32 v[0:1], null, s22, v27, 0
	v_ashrrev_i32_e32 v25, 31, v28
	v_mul_lo_u32 v31, s23, v28
	v_add_co_u32 v21, vcc_lo, v2, v6
	v_add_co_ci_u32_e32 v22, vcc_lo, v3, v7, vcc_lo
	v_lshlrev_b64 v[2:3], 4, v[4:5]
	v_mul_lo_u32 v30, s22, v25
	v_mad_u64_u32 v[25:26], null, s22, v28, 0
	s_delay_alu instid0(VALU_DEP_3) | instskip(SKIP_2) | instid1(VALU_DEP_4)
	v_mad_u64_u32 v[4:5], null, s23, v27, v[1:2]
	v_lshlrev_b64 v[27:28], 4, v[23:24]
	v_add_co_u32 v23, vcc_lo, v2, v29
	v_add3_u32 v26, v26, v30, v31
	v_add_co_ci_u32_e32 v24, vcc_lo, 0, v3, vcc_lo
	v_mov_b32_e32 v1, v4
	s_delay_alu instid0(VALU_DEP_3) | instskip(SKIP_1) | instid1(VALU_DEP_3)
	v_lshlrev_b64 v[2:3], 4, v[25:26]
	v_add_co_u32 v25, vcc_lo, v27, v6
	v_lshlrev_b64 v[0:1], 6, v[0:1]
	v_add_co_ci_u32_e32 v26, vcc_lo, v28, v7, vcc_lo
	s_delay_alu instid0(VALU_DEP_4) | instskip(SKIP_1) | instid1(VALU_DEP_4)
	v_add_co_u32 v27, vcc_lo, v2, v29
	v_add_co_ci_u32_e32 v28, vcc_lo, 0, v3, vcc_lo
	v_add_co_u32 v29, vcc_lo, v0, v6
	v_add_co_ci_u32_e32 v30, vcc_lo, v1, v7, vcc_lo
	v_mov_b32_e32 v0, s12
	v_dual_mov_b32 v2, s14 :: v_dual_mov_b32 v1, s13
	v_mov_b32_e32 v3, s15
	s_cselect_b32 s13, -1, 0
	s_lshl_b64 s[14:15], s[22:23], 10
	s_branch .LBB10_4
.LBB10_2:                               ;   in Loop: Header=BB10_4 Depth=1
	s_delay_alu instid0(VALU_DEP_1) | instskip(NEXT) | instid1(VALU_DEP_2)
	v_dual_mov_b32 v0, v4 :: v_dual_mov_b32 v1, v5
	v_dual_mov_b32 v2, v6 :: v_dual_mov_b32 v3, v7
.LBB10_3:                               ;   in Loop: Header=BB10_4 Depth=1
	s_or_b32 exec_lo, exec_lo, s27
	v_add_co_u32 v9, vcc_lo, 0x400, v9
	v_add_co_ci_u32_e32 v11, vcc_lo, 0, v11, vcc_lo
	v_add_co_u32 v12, vcc_lo, v12, s14
	v_add_co_ci_u32_e32 v13, vcc_lo, s15, v13, vcc_lo
	;; [unrolled: 2-line block ×5, first 2 shown]
	v_add_co_u32 v25, vcc_lo, v25, s14
	v_add_nc_u32_e32 v8, 64, v8
	v_add_co_ci_u32_e32 v26, vcc_lo, s15, v26, vcc_lo
	v_add_co_u32 v27, vcc_lo, 0x400, v27
	v_add_co_ci_u32_e32 v28, vcc_lo, 0, v28, vcc_lo
	s_delay_alu instid0(VALU_DEP_4) | instskip(SKIP_1) | instid1(VALU_DEP_1)
	v_cmp_le_i32_e32 vcc_lo, s19, v8
	v_add_co_u32 v29, s4, v29, s14
	v_add_co_ci_u32_e64 v30, s4, s15, v30, s4
	s_or_b32 s12, vcc_lo, s12
	s_delay_alu instid0(SALU_CYCLE_1)
	s_and_not1_b32 exec_lo, exec_lo, s12
	s_cbranch_execz .LBB10_27
.LBB10_4:                               ; =>This Inner Loop Header: Depth=1
	s_and_saveexec_b32 s27, s0
	s_cbranch_execnz .LBB10_8
; %bb.5:                                ;   in Loop: Header=BB10_4 Depth=1
	s_or_b32 exec_lo, exec_lo, s27
	s_and_saveexec_b32 s27, s1
	s_cbranch_execnz .LBB10_13
.LBB10_6:                               ;   in Loop: Header=BB10_4 Depth=1
	s_or_b32 exec_lo, exec_lo, s27
	s_and_saveexec_b32 s27, s2
	s_cbranch_execnz .LBB10_18
.LBB10_7:                               ;   in Loop: Header=BB10_4 Depth=1
	s_or_b32 exec_lo, exec_lo, s27
	s_and_saveexec_b32 s27, s3
	s_cbranch_execz .LBB10_3
	s_branch .LBB10_23
.LBB10_8:                               ;   in Loop: Header=BB10_4 Depth=1
	v_add_nc_u32_e32 v31, 1, v0
	s_and_not1_b32 vcc_lo, exec_lo, s13
	s_cbranch_vccnz .LBB10_10
; %bb.9:                                ;   in Loop: Header=BB10_4 Depth=1
	v_add_co_u32 v40, vcc_lo, s20, v9
	v_add_co_ci_u32_e32 v41, vcc_lo, s21, v11, vcc_lo
	s_clause 0x3
	global_load_b128 v[4:7], v[40:41], off
	global_load_b128 v[32:35], v[40:41], off offset:16
	global_load_b128 v[36:39], v[40:41], off offset:32
	global_load_b128 v[40:43], v[40:41], off offset:48
	s_waitcnt vmcnt(3)
	v_cmp_neq_f64_e32 vcc_lo, 0, v[4:5]
	v_cmp_neq_f64_e64 s4, 0, v[6:7]
	s_waitcnt vmcnt(2)
	v_cmp_neq_f64_e64 s5, 0, v[32:33]
	v_cmp_neq_f64_e64 s6, 0, v[34:35]
	s_waitcnt vmcnt(1)
	v_cmp_neq_f64_e64 s7, 0, v[36:37]
	;; [unrolled: 3-line block ×3, first 2 shown]
	v_cmp_neq_f64_e64 s10, 0, v[42:43]
	v_mov_b32_e32 v6, v2
	s_or_b32 vcc_lo, vcc_lo, s4
	v_cndmask_b32_e32 v4, v0, v31, vcc_lo
	s_or_b32 vcc_lo, s5, s6
	s_delay_alu instid0(VALU_DEP_1) | instskip(NEXT) | instid1(VALU_DEP_1)
	v_add_nc_u32_e32 v5, 1, v4
	v_cndmask_b32_e32 v4, v4, v5, vcc_lo
	s_or_b32 vcc_lo, s7, s8
	s_delay_alu instid0(VALU_DEP_1) | instskip(NEXT) | instid1(VALU_DEP_1)
	v_add_nc_u32_e32 v5, 1, v4
	v_cndmask_b32_e32 v4, v4, v5, vcc_lo
	s_or_b32 vcc_lo, s9, s10
	v_mov_b32_e32 v5, v1
	s_delay_alu instid0(VALU_DEP_2) | instskip(NEXT) | instid1(VALU_DEP_1)
	v_add_nc_u32_e32 v7, 1, v4
	v_dual_cndmask_b32 v4, v4, v7 :: v_dual_mov_b32 v7, v3
	s_cbranch_execz .LBB10_11
	s_branch .LBB10_12
.LBB10_10:                              ;   in Loop: Header=BB10_4 Depth=1
                                        ; implicit-def: $vgpr4_vgpr5_vgpr6_vgpr7
.LBB10_11:                              ;   in Loop: Header=BB10_4 Depth=1
	v_add_co_u32 v4, vcc_lo, s20, v29
	v_add_co_ci_u32_e32 v5, vcc_lo, s21, v30, vcc_lo
	v_add_co_u32 v32, vcc_lo, s20, v25
	v_add_co_ci_u32_e32 v33, vcc_lo, s21, v26, vcc_lo
	global_load_b128 v[4:7], v[4:5], off
	v_add_co_u32 v36, vcc_lo, s20, v21
	global_load_b128 v[32:35], v[32:33], off
	v_add_co_ci_u32_e32 v37, vcc_lo, s21, v22, vcc_lo
	v_add_co_u32 v40, vcc_lo, s20, v12
	v_add_co_ci_u32_e32 v41, vcc_lo, s21, v13, vcc_lo
	s_clause 0x1
	global_load_b128 v[36:39], v[36:37], off
	global_load_b128 v[40:43], v[40:41], off
	s_waitcnt vmcnt(3)
	v_cmp_neq_f64_e32 vcc_lo, 0, v[4:5]
	v_cmp_neq_f64_e64 s4, 0, v[6:7]
	s_waitcnt vmcnt(2)
	v_cmp_neq_f64_e64 s5, 0, v[32:33]
	v_cmp_neq_f64_e64 s6, 0, v[34:35]
	s_waitcnt vmcnt(1)
	v_cmp_neq_f64_e64 s7, 0, v[36:37]
	;; [unrolled: 3-line block ×3, first 2 shown]
	v_cmp_neq_f64_e64 s10, 0, v[42:43]
	s_or_b32 vcc_lo, vcc_lo, s4
	v_cndmask_b32_e32 v0, v0, v31, vcc_lo
	s_or_b32 vcc_lo, s5, s6
	s_delay_alu instid0(VALU_DEP_1) | instskip(NEXT) | instid1(VALU_DEP_1)
	v_add_nc_u32_e32 v4, 1, v0
	v_cndmask_b32_e32 v0, v0, v4, vcc_lo
	s_or_b32 vcc_lo, s7, s8
	s_delay_alu instid0(VALU_DEP_1) | instskip(NEXT) | instid1(VALU_DEP_1)
	v_add_nc_u32_e32 v4, 1, v0
	;; [unrolled: 4-line block ×3, first 2 shown]
	v_cndmask_b32_e32 v0, v0, v4, vcc_lo
	v_dual_mov_b32 v7, v3 :: v_dual_mov_b32 v6, v2
	s_delay_alu instid0(VALU_DEP_2)
	v_dual_mov_b32 v5, v1 :: v_dual_mov_b32 v4, v0
.LBB10_12:                              ;   in Loop: Header=BB10_4 Depth=1
	s_delay_alu instid0(VALU_DEP_1) | instskip(NEXT) | instid1(VALU_DEP_2)
	v_dual_mov_b32 v0, v4 :: v_dual_mov_b32 v1, v5
	v_dual_mov_b32 v2, v6 :: v_dual_mov_b32 v3, v7
	s_or_b32 exec_lo, exec_lo, s27
	s_and_saveexec_b32 s27, s1
	s_cbranch_execz .LBB10_6
.LBB10_13:                              ;   in Loop: Header=BB10_4 Depth=1
	v_add_nc_u32_e32 v31, 1, v1
	s_and_not1_b32 vcc_lo, exec_lo, s13
	s_cbranch_vccnz .LBB10_15
; %bb.14:                               ;   in Loop: Header=BB10_4 Depth=1
	v_add_co_u32 v40, vcc_lo, s20, v19
	v_add_co_ci_u32_e32 v41, vcc_lo, s21, v20, vcc_lo
	s_clause 0x3
	global_load_b128 v[4:7], v[40:41], off
	global_load_b128 v[32:35], v[40:41], off offset:16
	global_load_b128 v[36:39], v[40:41], off offset:32
	;; [unrolled: 1-line block ×3, first 2 shown]
	s_waitcnt vmcnt(3)
	v_cmp_neq_f64_e32 vcc_lo, 0, v[4:5]
	v_cmp_neq_f64_e64 s4, 0, v[6:7]
	s_waitcnt vmcnt(2)
	v_cmp_neq_f64_e64 s5, 0, v[32:33]
	v_cmp_neq_f64_e64 s6, 0, v[34:35]
	s_waitcnt vmcnt(1)
	v_cmp_neq_f64_e64 s7, 0, v[36:37]
	;; [unrolled: 3-line block ×3, first 2 shown]
	v_cmp_neq_f64_e64 s10, 0, v[42:43]
	v_mov_b32_e32 v6, v2
	s_or_b32 vcc_lo, vcc_lo, s4
	v_cndmask_b32_e32 v4, v1, v31, vcc_lo
	s_or_b32 vcc_lo, s5, s6
	s_delay_alu instid0(VALU_DEP_1) | instskip(NEXT) | instid1(VALU_DEP_1)
	v_add_nc_u32_e32 v5, 1, v4
	v_cndmask_b32_e32 v4, v4, v5, vcc_lo
	s_or_b32 vcc_lo, s7, s8
	s_delay_alu instid0(VALU_DEP_1) | instskip(NEXT) | instid1(VALU_DEP_1)
	v_add_nc_u32_e32 v5, 1, v4
	v_cndmask_b32_e32 v5, v4, v5, vcc_lo
	s_or_b32 vcc_lo, s9, s10
	s_delay_alu instid0(VALU_DEP_1) | instskip(NEXT) | instid1(VALU_DEP_1)
	v_dual_mov_b32 v4, v0 :: v_dual_add_nc_u32 v7, 1, v5
	v_cndmask_b32_e32 v5, v5, v7, vcc_lo
	v_mov_b32_e32 v7, v3
	s_cbranch_execz .LBB10_16
	s_branch .LBB10_17
.LBB10_15:                              ;   in Loop: Header=BB10_4 Depth=1
                                        ; implicit-def: $vgpr4_vgpr5_vgpr6_vgpr7
.LBB10_16:                              ;   in Loop: Header=BB10_4 Depth=1
	v_add_co_u32 v4, vcc_lo, s20, v29
	v_add_co_ci_u32_e32 v5, vcc_lo, s21, v30, vcc_lo
	v_add_co_u32 v32, vcc_lo, s20, v25
	v_add_co_ci_u32_e32 v33, vcc_lo, s21, v26, vcc_lo
	global_load_b128 v[4:7], v[4:5], off offset:1024
	v_add_co_u32 v36, vcc_lo, s20, v21
	global_load_b128 v[32:35], v[32:33], off offset:1024
	v_add_co_ci_u32_e32 v37, vcc_lo, s21, v22, vcc_lo
	v_add_co_u32 v40, vcc_lo, s20, v12
	v_add_co_ci_u32_e32 v41, vcc_lo, s21, v13, vcc_lo
	s_clause 0x1
	global_load_b128 v[36:39], v[36:37], off offset:1024
	global_load_b128 v[40:43], v[40:41], off offset:1024
	s_waitcnt vmcnt(3)
	v_cmp_neq_f64_e32 vcc_lo, 0, v[4:5]
	v_cmp_neq_f64_e64 s4, 0, v[6:7]
	s_waitcnt vmcnt(2)
	v_cmp_neq_f64_e64 s5, 0, v[32:33]
	v_cmp_neq_f64_e64 s6, 0, v[34:35]
	s_waitcnt vmcnt(1)
	v_cmp_neq_f64_e64 s7, 0, v[36:37]
	;; [unrolled: 3-line block ×3, first 2 shown]
	v_cmp_neq_f64_e64 s10, 0, v[42:43]
	s_or_b32 vcc_lo, vcc_lo, s4
	v_cndmask_b32_e32 v1, v1, v31, vcc_lo
	s_or_b32 vcc_lo, s5, s6
	s_delay_alu instid0(VALU_DEP_1) | instskip(NEXT) | instid1(VALU_DEP_1)
	v_add_nc_u32_e32 v4, 1, v1
	v_cndmask_b32_e32 v1, v1, v4, vcc_lo
	s_or_b32 vcc_lo, s7, s8
	s_delay_alu instid0(VALU_DEP_1) | instskip(NEXT) | instid1(VALU_DEP_1)
	v_add_nc_u32_e32 v4, 1, v1
	;; [unrolled: 4-line block ×3, first 2 shown]
	v_cndmask_b32_e32 v1, v1, v4, vcc_lo
	v_dual_mov_b32 v7, v3 :: v_dual_mov_b32 v6, v2
	s_delay_alu instid0(VALU_DEP_2)
	v_dual_mov_b32 v4, v0 :: v_dual_mov_b32 v5, v1
.LBB10_17:                              ;   in Loop: Header=BB10_4 Depth=1
	s_delay_alu instid0(VALU_DEP_1) | instskip(NEXT) | instid1(VALU_DEP_2)
	v_dual_mov_b32 v0, v4 :: v_dual_mov_b32 v1, v5
	v_dual_mov_b32 v2, v6 :: v_dual_mov_b32 v3, v7
	s_or_b32 exec_lo, exec_lo, s27
	s_and_saveexec_b32 s27, s2
	s_cbranch_execz .LBB10_7
.LBB10_18:                              ;   in Loop: Header=BB10_4 Depth=1
	s_delay_alu instid0(VALU_DEP_1)
	v_add_nc_u32_e32 v31, 1, v2
	s_and_not1_b32 vcc_lo, exec_lo, s13
	s_cbranch_vccnz .LBB10_20
; %bb.19:                               ;   in Loop: Header=BB10_4 Depth=1
	v_add_co_u32 v40, vcc_lo, s20, v23
	v_add_co_ci_u32_e32 v41, vcc_lo, s21, v24, vcc_lo
	s_clause 0x3
	global_load_b128 v[4:7], v[40:41], off
	global_load_b128 v[32:35], v[40:41], off offset:16
	global_load_b128 v[36:39], v[40:41], off offset:32
	;; [unrolled: 1-line block ×3, first 2 shown]
	s_waitcnt vmcnt(3)
	v_cmp_neq_f64_e32 vcc_lo, 0, v[4:5]
	v_cmp_neq_f64_e64 s4, 0, v[6:7]
	s_waitcnt vmcnt(2)
	v_cmp_neq_f64_e64 s5, 0, v[32:33]
	v_cmp_neq_f64_e64 s6, 0, v[34:35]
	s_waitcnt vmcnt(1)
	v_cmp_neq_f64_e64 s7, 0, v[36:37]
	v_cmp_neq_f64_e64 s8, 0, v[38:39]
	s_waitcnt vmcnt(0)
	v_cmp_neq_f64_e64 s9, 0, v[40:41]
	v_cmp_neq_f64_e64 s10, 0, v[42:43]
	s_or_b32 vcc_lo, vcc_lo, s4
	v_cndmask_b32_e32 v4, v2, v31, vcc_lo
	s_or_b32 vcc_lo, s5, s6
	s_delay_alu instid0(VALU_DEP_1) | instskip(NEXT) | instid1(VALU_DEP_1)
	v_add_nc_u32_e32 v5, 1, v4
	v_cndmask_b32_e32 v4, v4, v5, vcc_lo
	s_or_b32 vcc_lo, s7, s8
	s_delay_alu instid0(VALU_DEP_1) | instskip(NEXT) | instid1(VALU_DEP_1)
	v_add_nc_u32_e32 v5, 1, v4
	v_cndmask_b32_e32 v6, v4, v5, vcc_lo
	s_or_b32 vcc_lo, s9, s10
	v_dual_mov_b32 v4, v0 :: v_dual_mov_b32 v5, v1
	s_delay_alu instid0(VALU_DEP_2) | instskip(NEXT) | instid1(VALU_DEP_1)
	v_add_nc_u32_e32 v7, 1, v6
	v_dual_cndmask_b32 v6, v6, v7 :: v_dual_mov_b32 v7, v3
	s_cbranch_execz .LBB10_21
	s_branch .LBB10_22
.LBB10_20:                              ;   in Loop: Header=BB10_4 Depth=1
                                        ; implicit-def: $vgpr4_vgpr5_vgpr6_vgpr7
.LBB10_21:                              ;   in Loop: Header=BB10_4 Depth=1
	v_add_co_u32 v4, vcc_lo, s20, v29
	v_add_co_ci_u32_e32 v5, vcc_lo, s21, v30, vcc_lo
	v_add_co_u32 v32, vcc_lo, s20, v25
	v_add_co_ci_u32_e32 v33, vcc_lo, s21, v26, vcc_lo
	global_load_b128 v[4:7], v[4:5], off offset:2048
	v_add_co_u32 v36, vcc_lo, s20, v21
	global_load_b128 v[32:35], v[32:33], off offset:2048
	v_add_co_ci_u32_e32 v37, vcc_lo, s21, v22, vcc_lo
	v_add_co_u32 v40, vcc_lo, s20, v12
	v_add_co_ci_u32_e32 v41, vcc_lo, s21, v13, vcc_lo
	s_clause 0x1
	global_load_b128 v[36:39], v[36:37], off offset:2048
	global_load_b128 v[40:43], v[40:41], off offset:2048
	s_waitcnt vmcnt(3)
	v_cmp_neq_f64_e32 vcc_lo, 0, v[4:5]
	v_cmp_neq_f64_e64 s4, 0, v[6:7]
	s_waitcnt vmcnt(2)
	v_cmp_neq_f64_e64 s5, 0, v[32:33]
	v_cmp_neq_f64_e64 s6, 0, v[34:35]
	s_waitcnt vmcnt(1)
	v_cmp_neq_f64_e64 s7, 0, v[36:37]
	;; [unrolled: 3-line block ×3, first 2 shown]
	v_cmp_neq_f64_e64 s10, 0, v[42:43]
	s_or_b32 vcc_lo, vcc_lo, s4
	v_cndmask_b32_e32 v2, v2, v31, vcc_lo
	s_or_b32 vcc_lo, s5, s6
	s_delay_alu instid0(VALU_DEP_1) | instskip(NEXT) | instid1(VALU_DEP_1)
	v_add_nc_u32_e32 v4, 1, v2
	v_cndmask_b32_e32 v2, v2, v4, vcc_lo
	s_or_b32 vcc_lo, s7, s8
	s_delay_alu instid0(VALU_DEP_1) | instskip(NEXT) | instid1(VALU_DEP_1)
	v_add_nc_u32_e32 v4, 1, v2
	;; [unrolled: 4-line block ×3, first 2 shown]
	v_cndmask_b32_e32 v2, v2, v4, vcc_lo
	v_mov_b32_e32 v7, v3
	v_dual_mov_b32 v5, v1 :: v_dual_mov_b32 v4, v0
	s_delay_alu instid0(VALU_DEP_3)
	v_mov_b32_e32 v6, v2
.LBB10_22:                              ;   in Loop: Header=BB10_4 Depth=1
	s_delay_alu instid0(VALU_DEP_2) | instskip(NEXT) | instid1(VALU_DEP_2)
	v_dual_mov_b32 v0, v4 :: v_dual_mov_b32 v1, v5
	v_dual_mov_b32 v2, v6 :: v_dual_mov_b32 v3, v7
	s_or_b32 exec_lo, exec_lo, s27
	s_and_saveexec_b32 s27, s3
	s_cbranch_execz .LBB10_3
.LBB10_23:                              ;   in Loop: Header=BB10_4 Depth=1
	s_delay_alu instid0(VALU_DEP_1)
	v_add_nc_u32_e32 v31, 1, v3
	s_and_not1_b32 vcc_lo, exec_lo, s13
	s_cbranch_vccnz .LBB10_25
; %bb.24:                               ;   in Loop: Header=BB10_4 Depth=1
	v_add_co_u32 v40, vcc_lo, s20, v27
	v_add_co_ci_u32_e32 v41, vcc_lo, s21, v28, vcc_lo
	s_clause 0x3
	global_load_b128 v[4:7], v[40:41], off
	global_load_b128 v[32:35], v[40:41], off offset:16
	global_load_b128 v[36:39], v[40:41], off offset:32
	;; [unrolled: 1-line block ×3, first 2 shown]
	s_waitcnt vmcnt(3)
	v_cmp_neq_f64_e32 vcc_lo, 0, v[4:5]
	v_cmp_neq_f64_e64 s4, 0, v[6:7]
	s_waitcnt vmcnt(2)
	v_cmp_neq_f64_e64 s5, 0, v[32:33]
	v_cmp_neq_f64_e64 s6, 0, v[34:35]
	s_waitcnt vmcnt(1)
	v_cmp_neq_f64_e64 s7, 0, v[36:37]
	;; [unrolled: 3-line block ×3, first 2 shown]
	v_cmp_neq_f64_e64 s10, 0, v[42:43]
	s_or_b32 vcc_lo, vcc_lo, s4
	v_cndmask_b32_e32 v4, v3, v31, vcc_lo
	s_or_b32 vcc_lo, s5, s6
	s_delay_alu instid0(VALU_DEP_1) | instskip(NEXT) | instid1(VALU_DEP_1)
	v_add_nc_u32_e32 v5, 1, v4
	v_cndmask_b32_e32 v4, v4, v5, vcc_lo
	s_or_b32 vcc_lo, s7, s8
	s_delay_alu instid0(VALU_DEP_1) | instskip(NEXT) | instid1(VALU_DEP_1)
	v_add_nc_u32_e32 v5, 1, v4
	v_cndmask_b32_e32 v6, v4, v5, vcc_lo
	s_or_b32 vcc_lo, s9, s10
	v_dual_mov_b32 v4, v0 :: v_dual_mov_b32 v5, v1
	s_delay_alu instid0(VALU_DEP_2) | instskip(NEXT) | instid1(VALU_DEP_1)
	v_add_nc_u32_e32 v7, 1, v6
	v_cndmask_b32_e32 v7, v6, v7, vcc_lo
	v_mov_b32_e32 v6, v2
	s_cbranch_execnz .LBB10_2
	s_branch .LBB10_26
.LBB10_25:                              ;   in Loop: Header=BB10_4 Depth=1
                                        ; implicit-def: $vgpr4_vgpr5_vgpr6_vgpr7
.LBB10_26:                              ;   in Loop: Header=BB10_4 Depth=1
	v_add_co_u32 v4, vcc_lo, s20, v29
	v_add_co_ci_u32_e32 v5, vcc_lo, s21, v30, vcc_lo
	v_add_co_u32 v32, vcc_lo, s20, v25
	v_add_co_ci_u32_e32 v33, vcc_lo, s21, v26, vcc_lo
	global_load_b128 v[4:7], v[4:5], off offset:3072
	v_add_co_u32 v36, vcc_lo, s20, v21
	global_load_b128 v[32:35], v[32:33], off offset:3072
	v_add_co_ci_u32_e32 v37, vcc_lo, s21, v22, vcc_lo
	v_add_co_u32 v40, vcc_lo, s20, v12
	v_add_co_ci_u32_e32 v41, vcc_lo, s21, v13, vcc_lo
	s_clause 0x1
	global_load_b128 v[36:39], v[36:37], off offset:3072
	global_load_b128 v[40:43], v[40:41], off offset:3072
	s_waitcnt vmcnt(3)
	v_cmp_neq_f64_e32 vcc_lo, 0, v[4:5]
	v_cmp_neq_f64_e64 s4, 0, v[6:7]
	s_waitcnt vmcnt(2)
	v_cmp_neq_f64_e64 s5, 0, v[32:33]
	v_cmp_neq_f64_e64 s6, 0, v[34:35]
	s_waitcnt vmcnt(1)
	v_cmp_neq_f64_e64 s7, 0, v[36:37]
	;; [unrolled: 3-line block ×3, first 2 shown]
	v_cmp_neq_f64_e64 s10, 0, v[42:43]
	s_or_b32 vcc_lo, vcc_lo, s4
	v_cndmask_b32_e32 v3, v3, v31, vcc_lo
	s_or_b32 vcc_lo, s5, s6
	s_delay_alu instid0(VALU_DEP_1) | instskip(NEXT) | instid1(VALU_DEP_1)
	v_add_nc_u32_e32 v4, 1, v3
	v_cndmask_b32_e32 v3, v3, v4, vcc_lo
	s_or_b32 vcc_lo, s7, s8
	s_delay_alu instid0(VALU_DEP_1) | instskip(NEXT) | instid1(VALU_DEP_1)
	v_add_nc_u32_e32 v4, 1, v3
	;; [unrolled: 4-line block ×3, first 2 shown]
	v_cndmask_b32_e32 v3, v3, v4, vcc_lo
	s_delay_alu instid0(VALU_DEP_1)
	v_dual_mov_b32 v7, v3 :: v_dual_mov_b32 v6, v2
	v_dual_mov_b32 v5, v1 :: v_dual_mov_b32 v4, v0
	s_branch .LBB10_2
.LBB10_27:
	s_or_b32 exec_lo, exec_lo, s12
.LBB10_28:
	s_delay_alu instid0(SALU_CYCLE_1) | instskip(SKIP_1) | instid1(SALU_CYCLE_1)
	s_or_b32 exec_lo, exec_lo, s26
	s_sub_i32 s0, s18, s19
	s_cmp_lt_i32 s0, 1
	s_cbranch_scc1 .LBB10_126
; %bb.29:
	v_mov_b32_e32 v9, 0
	s_cmp_eq_u32 s16, 1
	v_ashrrev_i32_e32 v11, 31, v10
	s_cselect_b32 s2, -1, 0
	s_cmp_lg_u32 s16, 1
	v_lshlrev_b64 v[4:5], 4, v[8:9]
	s_cselect_b32 s1, -1, 0
	s_mov_b32 s3, exec_lo
	s_delay_alu instid0(VALU_DEP_1) | instskip(NEXT) | instid1(VALU_DEP_1)
	v_add_co_u32 v9, s0, s20, v4
	v_add_co_ci_u32_e64 v19, s0, s21, v5, s0
	v_cmpx_gt_i32_e64 s17, v10
	s_cbranch_execnz .LBB10_33
; %bb.30:
	s_or_b32 exec_lo, exec_lo, s3
	s_delay_alu instid0(SALU_CYCLE_1)
	s_mov_b32 s3, exec_lo
	v_cmpx_gt_i32_e64 s17, v18
	s_cbranch_execnz .LBB10_56
.LBB10_31:
	s_or_b32 exec_lo, exec_lo, s3
	s_delay_alu instid0(SALU_CYCLE_1)
	s_mov_b32 s3, exec_lo
	v_cmpx_gt_i32_e64 s17, v17
	s_cbranch_execnz .LBB10_79
.LBB10_32:
	s_or_b32 exec_lo, exec_lo, s3
	s_delay_alu instid0(SALU_CYCLE_1)
	s_mov_b32 s3, exec_lo
	v_cmpx_gt_i32_e64 s17, v16
	s_cbranch_execnz .LBB10_102
	s_branch .LBB10_125
.LBB10_33:
	v_mul_lo_u32 v6, v10, s23
	v_mul_lo_u32 v7, v11, s22
	v_mad_u64_u32 v[4:5], null, v10, s22, 0
	s_mov_b32 s4, exec_lo
	s_delay_alu instid0(VALU_DEP_1) | instskip(SKIP_1) | instid1(VALU_DEP_2)
	v_add3_u32 v5, v5, v6, v7
	v_lshlrev_b64 v[6:7], 4, v[10:11]
	v_lshlrev_b64 v[4:5], 4, v[4:5]
	s_delay_alu instid0(VALU_DEP_2) | instskip(NEXT) | instid1(VALU_DEP_3)
	v_add_co_u32 v20, vcc_lo, s20, v6
	v_add_co_ci_u32_e32 v21, vcc_lo, s21, v7, vcc_lo
	s_delay_alu instid0(VALU_DEP_3) | instskip(NEXT) | instid1(VALU_DEP_4)
	v_add_co_u32 v4, vcc_lo, v9, v4
	v_add_co_ci_u32_e32 v5, vcc_lo, v19, v5, vcc_lo
	v_cmpx_gt_i32_e64 s18, v8
	s_cbranch_execz .LBB10_37
; %bb.34:
	s_delay_alu instid0(VALU_DEP_2)
	v_dual_mov_b32 v7, v5 :: v_dual_mov_b32 v6, v4
	s_and_not1_b32 vcc_lo, exec_lo, s2
	s_cbranch_vccnz .LBB10_36
; %bb.35:
	v_mad_u64_u32 v[6:7], null, v8, s22, 0
	s_delay_alu instid0(VALU_DEP_1) | instskip(NEXT) | instid1(VALU_DEP_1)
	v_mad_u64_u32 v[12:13], null, v8, s23, v[7:8]
	v_mov_b32_e32 v7, v12
	s_delay_alu instid0(VALU_DEP_1) | instskip(NEXT) | instid1(VALU_DEP_1)
	v_lshlrev_b64 v[6:7], 4, v[6:7]
	v_add_co_u32 v6, vcc_lo, v20, v6
	s_delay_alu instid0(VALU_DEP_2)
	v_add_co_ci_u32_e32 v7, vcc_lo, v21, v7, vcc_lo
.LBB10_36:
	global_load_b128 v[22:25], v[6:7], off
	s_waitcnt vmcnt(0)
	v_cmp_neq_f64_e32 vcc_lo, 0, v[22:23]
	v_cmp_neq_f64_e64 s0, 0, v[24:25]
	s_delay_alu instid0(VALU_DEP_1)
	s_or_b32 vcc_lo, vcc_lo, s0
	v_add_co_ci_u32_e32 v0, vcc_lo, 0, v0, vcc_lo
.LBB10_37:
	s_or_b32 exec_lo, exec_lo, s4
	v_or_b32_e32 v22, 1, v8
	s_mov_b32 s4, exec_lo
	s_delay_alu instid0(VALU_DEP_1)
	v_cmpx_gt_i32_e64 s18, v22
	s_cbranch_execz .LBB10_43
; %bb.38:
	s_and_not1_b32 vcc_lo, exec_lo, s1
	s_cbranch_vccnz .LBB10_40
; %bb.39:
	v_add_co_u32 v6, vcc_lo, v4, 16
	v_add_co_ci_u32_e32 v7, vcc_lo, 0, v5, vcc_lo
	v_add_co_u32 v12, vcc_lo, v4, 24
	v_add_co_ci_u32_e32 v13, vcc_lo, 0, v5, vcc_lo
	s_cbranch_execz .LBB10_41
	s_branch .LBB10_42
.LBB10_40:
                                        ; implicit-def: $vgpr6_vgpr7
                                        ; implicit-def: $vgpr12_vgpr13
.LBB10_41:
	v_mad_u64_u32 v[6:7], null, v22, s22, 0
	s_delay_alu instid0(VALU_DEP_1) | instskip(NEXT) | instid1(VALU_DEP_1)
	v_mad_u64_u32 v[12:13], null, v22, s23, v[7:8]
	v_mov_b32_e32 v7, v12
	s_delay_alu instid0(VALU_DEP_1) | instskip(NEXT) | instid1(VALU_DEP_1)
	v_lshlrev_b64 v[6:7], 4, v[6:7]
	v_add_co_u32 v6, vcc_lo, v20, v6
	s_delay_alu instid0(VALU_DEP_2) | instskip(NEXT) | instid1(VALU_DEP_2)
	v_add_co_ci_u32_e32 v7, vcc_lo, v21, v7, vcc_lo
	v_add_co_u32 v12, vcc_lo, v6, 8
	s_delay_alu instid0(VALU_DEP_2)
	v_add_co_ci_u32_e32 v13, vcc_lo, 0, v7, vcc_lo
.LBB10_42:
	global_load_b64 v[6:7], v[6:7], off
	global_load_b64 v[12:13], v[12:13], off
	s_waitcnt vmcnt(1)
	v_cmp_neq_f64_e32 vcc_lo, 0, v[6:7]
	s_waitcnt vmcnt(0)
	v_cmp_neq_f64_e64 s0, 0, v[12:13]
	s_delay_alu instid0(VALU_DEP_1)
	s_or_b32 vcc_lo, vcc_lo, s0
	v_add_co_ci_u32_e32 v0, vcc_lo, 0, v0, vcc_lo
.LBB10_43:
	s_or_b32 exec_lo, exec_lo, s4
	v_or_b32_e32 v22, 2, v8
	s_mov_b32 s4, exec_lo
	s_delay_alu instid0(VALU_DEP_1)
	v_cmpx_gt_i32_e64 s18, v22
	s_cbranch_execz .LBB10_49
; %bb.44:
	s_and_not1_b32 vcc_lo, exec_lo, s1
	s_cbranch_vccnz .LBB10_46
; %bb.45:
	v_add_co_u32 v6, vcc_lo, v4, 32
	v_add_co_ci_u32_e32 v7, vcc_lo, 0, v5, vcc_lo
	v_add_co_u32 v12, vcc_lo, v4, 40
	v_add_co_ci_u32_e32 v13, vcc_lo, 0, v5, vcc_lo
	s_cbranch_execz .LBB10_47
	s_branch .LBB10_48
.LBB10_46:
                                        ; implicit-def: $vgpr6_vgpr7
                                        ; implicit-def: $vgpr12_vgpr13
.LBB10_47:
	v_mad_u64_u32 v[6:7], null, v22, s22, 0
	s_delay_alu instid0(VALU_DEP_1) | instskip(NEXT) | instid1(VALU_DEP_1)
	v_mad_u64_u32 v[12:13], null, v22, s23, v[7:8]
	v_mov_b32_e32 v7, v12
	s_delay_alu instid0(VALU_DEP_1) | instskip(NEXT) | instid1(VALU_DEP_1)
	v_lshlrev_b64 v[6:7], 4, v[6:7]
	v_add_co_u32 v6, vcc_lo, v20, v6
	s_delay_alu instid0(VALU_DEP_2) | instskip(NEXT) | instid1(VALU_DEP_2)
	v_add_co_ci_u32_e32 v7, vcc_lo, v21, v7, vcc_lo
	v_add_co_u32 v12, vcc_lo, v6, 8
	s_delay_alu instid0(VALU_DEP_2)
	v_add_co_ci_u32_e32 v13, vcc_lo, 0, v7, vcc_lo
.LBB10_48:
	global_load_b64 v[6:7], v[6:7], off
	global_load_b64 v[12:13], v[12:13], off
	s_waitcnt vmcnt(1)
	v_cmp_neq_f64_e32 vcc_lo, 0, v[6:7]
	s_waitcnt vmcnt(0)
	v_cmp_neq_f64_e64 s0, 0, v[12:13]
	s_delay_alu instid0(VALU_DEP_1)
	s_or_b32 vcc_lo, vcc_lo, s0
	v_add_co_ci_u32_e32 v0, vcc_lo, 0, v0, vcc_lo
.LBB10_49:
	s_or_b32 exec_lo, exec_lo, s4
	v_or_b32_e32 v12, 3, v8
	s_mov_b32 s4, exec_lo
	s_delay_alu instid0(VALU_DEP_1)
	v_cmpx_gt_i32_e64 s18, v12
	s_cbranch_execz .LBB10_55
; %bb.50:
	s_and_not1_b32 vcc_lo, exec_lo, s1
	s_cbranch_vccnz .LBB10_52
; %bb.51:
	v_add_co_u32 v6, vcc_lo, v4, 48
	v_add_co_ci_u32_e32 v7, vcc_lo, 0, v5, vcc_lo
	v_add_co_u32 v4, vcc_lo, v4, 56
	v_add_co_ci_u32_e32 v5, vcc_lo, 0, v5, vcc_lo
	s_cbranch_execz .LBB10_53
	s_branch .LBB10_54
.LBB10_52:
                                        ; implicit-def: $vgpr6_vgpr7
                                        ; implicit-def: $vgpr4_vgpr5
.LBB10_53:
	v_mad_u64_u32 v[4:5], null, v12, s22, 0
	s_delay_alu instid0(VALU_DEP_1) | instskip(NEXT) | instid1(VALU_DEP_1)
	v_mad_u64_u32 v[6:7], null, v12, s23, v[5:6]
	v_mov_b32_e32 v5, v6
	s_delay_alu instid0(VALU_DEP_1) | instskip(NEXT) | instid1(VALU_DEP_1)
	v_lshlrev_b64 v[4:5], 4, v[4:5]
	v_add_co_u32 v6, vcc_lo, v20, v4
	s_delay_alu instid0(VALU_DEP_2) | instskip(NEXT) | instid1(VALU_DEP_2)
	v_add_co_ci_u32_e32 v7, vcc_lo, v21, v5, vcc_lo
	v_add_co_u32 v4, vcc_lo, v6, 8
	s_delay_alu instid0(VALU_DEP_2)
	v_add_co_ci_u32_e32 v5, vcc_lo, 0, v7, vcc_lo
.LBB10_54:
	global_load_b64 v[6:7], v[6:7], off
	global_load_b64 v[4:5], v[4:5], off
	s_waitcnt vmcnt(1)
	v_cmp_neq_f64_e32 vcc_lo, 0, v[6:7]
	s_waitcnt vmcnt(0)
	v_cmp_neq_f64_e64 s0, 0, v[4:5]
	s_delay_alu instid0(VALU_DEP_1)
	s_or_b32 vcc_lo, vcc_lo, s0
	v_add_co_ci_u32_e32 v0, vcc_lo, 0, v0, vcc_lo
.LBB10_55:
	s_or_b32 exec_lo, exec_lo, s4
	s_delay_alu instid0(SALU_CYCLE_1) | instskip(NEXT) | instid1(SALU_CYCLE_1)
	s_or_b32 exec_lo, exec_lo, s3
	s_mov_b32 s3, exec_lo
	v_cmpx_gt_i32_e64 s17, v18
	s_cbranch_execz .LBB10_31
.LBB10_56:
	v_ashrrev_i32_e32 v6, 31, v18
	v_mul_lo_u32 v7, v18, s23
	v_mad_u64_u32 v[4:5], null, v18, s22, 0
	s_mov_b32 s4, exec_lo
	s_delay_alu instid0(VALU_DEP_3) | instskip(NEXT) | instid1(VALU_DEP_1)
	v_mul_lo_u32 v6, v6, s22
	v_add3_u32 v5, v5, v7, v6
	v_lshlrev_b64 v[6:7], 4, v[10:11]
	s_delay_alu instid0(VALU_DEP_2) | instskip(NEXT) | instid1(VALU_DEP_2)
	v_lshlrev_b64 v[4:5], 4, v[4:5]
	v_add_co_u32 v18, vcc_lo, s20, v6
	s_delay_alu instid0(VALU_DEP_3) | instskip(NEXT) | instid1(VALU_DEP_3)
	v_add_co_ci_u32_e32 v20, vcc_lo, s21, v7, vcc_lo
	v_add_co_u32 v4, vcc_lo, v9, v4
	s_delay_alu instid0(VALU_DEP_4)
	v_add_co_ci_u32_e32 v5, vcc_lo, v19, v5, vcc_lo
	v_cmpx_gt_i32_e64 s18, v8
	s_cbranch_execz .LBB10_60
; %bb.57:
	s_delay_alu instid0(VALU_DEP_2)
	v_dual_mov_b32 v7, v5 :: v_dual_mov_b32 v6, v4
	s_and_not1_b32 vcc_lo, exec_lo, s2
	s_cbranch_vccnz .LBB10_59
; %bb.58:
	v_mad_u64_u32 v[6:7], null, v8, s22, 0
	s_delay_alu instid0(VALU_DEP_1) | instskip(NEXT) | instid1(VALU_DEP_1)
	v_mad_u64_u32 v[12:13], null, v8, s23, v[7:8]
	v_mov_b32_e32 v7, v12
	s_delay_alu instid0(VALU_DEP_1) | instskip(NEXT) | instid1(VALU_DEP_1)
	v_lshlrev_b64 v[6:7], 4, v[6:7]
	v_add_co_u32 v6, vcc_lo, v18, v6
	s_delay_alu instid0(VALU_DEP_2) | instskip(NEXT) | instid1(VALU_DEP_2)
	v_add_co_ci_u32_e32 v7, vcc_lo, v20, v7, vcc_lo
	v_add_co_u32 v6, vcc_lo, 0x400, v6
	s_delay_alu instid0(VALU_DEP_2)
	v_add_co_ci_u32_e32 v7, vcc_lo, 0, v7, vcc_lo
.LBB10_59:
	global_load_b128 v[21:24], v[6:7], off
	s_waitcnt vmcnt(0)
	v_cmp_neq_f64_e32 vcc_lo, 0, v[21:22]
	v_cmp_neq_f64_e64 s0, 0, v[23:24]
	s_delay_alu instid0(VALU_DEP_1)
	s_or_b32 vcc_lo, vcc_lo, s0
	v_add_co_ci_u32_e32 v1, vcc_lo, 0, v1, vcc_lo
.LBB10_60:
	s_or_b32 exec_lo, exec_lo, s4
	v_or_b32_e32 v21, 1, v8
	s_mov_b32 s4, exec_lo
	s_delay_alu instid0(VALU_DEP_1)
	v_cmpx_gt_i32_e64 s18, v21
	s_cbranch_execz .LBB10_66
; %bb.61:
	s_and_not1_b32 vcc_lo, exec_lo, s1
	s_cbranch_vccnz .LBB10_63
; %bb.62:
	v_add_co_u32 v6, vcc_lo, v4, 16
	v_add_co_ci_u32_e32 v7, vcc_lo, 0, v5, vcc_lo
	v_add_co_u32 v12, vcc_lo, v4, 24
	v_add_co_ci_u32_e32 v13, vcc_lo, 0, v5, vcc_lo
	s_cbranch_execz .LBB10_64
	s_branch .LBB10_65
.LBB10_63:
                                        ; implicit-def: $vgpr6_vgpr7
                                        ; implicit-def: $vgpr12_vgpr13
.LBB10_64:
	v_mad_u64_u32 v[6:7], null, v21, s22, 0
	s_delay_alu instid0(VALU_DEP_1) | instskip(NEXT) | instid1(VALU_DEP_1)
	v_mad_u64_u32 v[12:13], null, v21, s23, v[7:8]
	v_mov_b32_e32 v7, v12
	s_delay_alu instid0(VALU_DEP_1) | instskip(NEXT) | instid1(VALU_DEP_1)
	v_lshlrev_b64 v[6:7], 4, v[6:7]
	v_add_co_u32 v12, vcc_lo, v18, v6
	s_delay_alu instid0(VALU_DEP_2) | instskip(NEXT) | instid1(VALU_DEP_2)
	v_add_co_ci_u32_e32 v13, vcc_lo, v20, v7, vcc_lo
	v_add_co_u32 v6, vcc_lo, 0x400, v12
	s_delay_alu instid0(VALU_DEP_2)
	v_add_co_ci_u32_e32 v7, vcc_lo, 0, v13, vcc_lo
	v_add_co_u32 v12, vcc_lo, 0x408, v12
	v_add_co_ci_u32_e32 v13, vcc_lo, 0, v13, vcc_lo
.LBB10_65:
	global_load_b64 v[6:7], v[6:7], off
	global_load_b64 v[12:13], v[12:13], off
	s_waitcnt vmcnt(1)
	v_cmp_neq_f64_e32 vcc_lo, 0, v[6:7]
	s_waitcnt vmcnt(0)
	v_cmp_neq_f64_e64 s0, 0, v[12:13]
	s_delay_alu instid0(VALU_DEP_1)
	s_or_b32 vcc_lo, vcc_lo, s0
	v_add_co_ci_u32_e32 v1, vcc_lo, 0, v1, vcc_lo
.LBB10_66:
	s_or_b32 exec_lo, exec_lo, s4
	v_or_b32_e32 v21, 2, v8
	s_mov_b32 s4, exec_lo
	s_delay_alu instid0(VALU_DEP_1)
	v_cmpx_gt_i32_e64 s18, v21
	s_cbranch_execz .LBB10_72
; %bb.67:
	s_and_not1_b32 vcc_lo, exec_lo, s1
	s_cbranch_vccnz .LBB10_69
; %bb.68:
	v_add_co_u32 v6, vcc_lo, v4, 32
	v_add_co_ci_u32_e32 v7, vcc_lo, 0, v5, vcc_lo
	v_add_co_u32 v12, vcc_lo, v4, 40
	v_add_co_ci_u32_e32 v13, vcc_lo, 0, v5, vcc_lo
	s_cbranch_execz .LBB10_70
	s_branch .LBB10_71
.LBB10_69:
                                        ; implicit-def: $vgpr6_vgpr7
                                        ; implicit-def: $vgpr12_vgpr13
.LBB10_70:
	v_mad_u64_u32 v[6:7], null, v21, s22, 0
	s_delay_alu instid0(VALU_DEP_1) | instskip(NEXT) | instid1(VALU_DEP_1)
	v_mad_u64_u32 v[12:13], null, v21, s23, v[7:8]
	v_mov_b32_e32 v7, v12
	s_delay_alu instid0(VALU_DEP_1) | instskip(NEXT) | instid1(VALU_DEP_1)
	v_lshlrev_b64 v[6:7], 4, v[6:7]
	v_add_co_u32 v12, vcc_lo, v18, v6
	s_delay_alu instid0(VALU_DEP_2) | instskip(NEXT) | instid1(VALU_DEP_2)
	v_add_co_ci_u32_e32 v13, vcc_lo, v20, v7, vcc_lo
	v_add_co_u32 v6, vcc_lo, 0x400, v12
	s_delay_alu instid0(VALU_DEP_2)
	v_add_co_ci_u32_e32 v7, vcc_lo, 0, v13, vcc_lo
	v_add_co_u32 v12, vcc_lo, 0x408, v12
	v_add_co_ci_u32_e32 v13, vcc_lo, 0, v13, vcc_lo
.LBB10_71:
	global_load_b64 v[6:7], v[6:7], off
	global_load_b64 v[12:13], v[12:13], off
	s_waitcnt vmcnt(1)
	v_cmp_neq_f64_e32 vcc_lo, 0, v[6:7]
	s_waitcnt vmcnt(0)
	v_cmp_neq_f64_e64 s0, 0, v[12:13]
	s_delay_alu instid0(VALU_DEP_1)
	s_or_b32 vcc_lo, vcc_lo, s0
	v_add_co_ci_u32_e32 v1, vcc_lo, 0, v1, vcc_lo
.LBB10_72:
	s_or_b32 exec_lo, exec_lo, s4
	v_or_b32_e32 v12, 3, v8
	s_mov_b32 s4, exec_lo
	s_delay_alu instid0(VALU_DEP_1)
	v_cmpx_gt_i32_e64 s18, v12
	s_cbranch_execz .LBB10_78
; %bb.73:
	s_and_not1_b32 vcc_lo, exec_lo, s1
	s_cbranch_vccnz .LBB10_75
; %bb.74:
	v_add_co_u32 v6, vcc_lo, v4, 48
	v_add_co_ci_u32_e32 v7, vcc_lo, 0, v5, vcc_lo
	v_add_co_u32 v4, vcc_lo, v4, 56
	v_add_co_ci_u32_e32 v5, vcc_lo, 0, v5, vcc_lo
	s_cbranch_execz .LBB10_76
	s_branch .LBB10_77
.LBB10_75:
                                        ; implicit-def: $vgpr6_vgpr7
                                        ; implicit-def: $vgpr4_vgpr5
.LBB10_76:
	v_mad_u64_u32 v[4:5], null, v12, s22, 0
	s_delay_alu instid0(VALU_DEP_1) | instskip(NEXT) | instid1(VALU_DEP_1)
	v_mad_u64_u32 v[6:7], null, v12, s23, v[5:6]
	v_mov_b32_e32 v5, v6
	s_delay_alu instid0(VALU_DEP_1) | instskip(NEXT) | instid1(VALU_DEP_1)
	v_lshlrev_b64 v[4:5], 4, v[4:5]
	v_add_co_u32 v4, vcc_lo, v18, v4
	s_delay_alu instid0(VALU_DEP_2) | instskip(NEXT) | instid1(VALU_DEP_2)
	v_add_co_ci_u32_e32 v5, vcc_lo, v20, v5, vcc_lo
	v_add_co_u32 v6, vcc_lo, 0x400, v4
	s_delay_alu instid0(VALU_DEP_2)
	v_add_co_ci_u32_e32 v7, vcc_lo, 0, v5, vcc_lo
	v_add_co_u32 v4, vcc_lo, 0x408, v4
	v_add_co_ci_u32_e32 v5, vcc_lo, 0, v5, vcc_lo
.LBB10_77:
	global_load_b64 v[6:7], v[6:7], off
	global_load_b64 v[4:5], v[4:5], off
	s_waitcnt vmcnt(1)
	v_cmp_neq_f64_e32 vcc_lo, 0, v[6:7]
	s_waitcnt vmcnt(0)
	v_cmp_neq_f64_e64 s0, 0, v[4:5]
	s_delay_alu instid0(VALU_DEP_1)
	s_or_b32 vcc_lo, vcc_lo, s0
	v_add_co_ci_u32_e32 v1, vcc_lo, 0, v1, vcc_lo
.LBB10_78:
	s_or_b32 exec_lo, exec_lo, s4
	s_delay_alu instid0(SALU_CYCLE_1) | instskip(NEXT) | instid1(SALU_CYCLE_1)
	s_or_b32 exec_lo, exec_lo, s3
	s_mov_b32 s3, exec_lo
	v_cmpx_gt_i32_e64 s17, v17
	s_cbranch_execz .LBB10_32
.LBB10_79:
	v_ashrrev_i32_e32 v6, 31, v17
	v_mul_lo_u32 v7, v17, s23
	v_mad_u64_u32 v[4:5], null, v17, s22, 0
	s_mov_b32 s4, exec_lo
	s_delay_alu instid0(VALU_DEP_3) | instskip(NEXT) | instid1(VALU_DEP_1)
	v_mul_lo_u32 v6, v6, s22
	v_add3_u32 v5, v5, v7, v6
	v_lshlrev_b64 v[6:7], 4, v[10:11]
	s_delay_alu instid0(VALU_DEP_2) | instskip(NEXT) | instid1(VALU_DEP_2)
	v_lshlrev_b64 v[4:5], 4, v[4:5]
	v_add_co_u32 v17, vcc_lo, s20, v6
	s_delay_alu instid0(VALU_DEP_3) | instskip(NEXT) | instid1(VALU_DEP_3)
	v_add_co_ci_u32_e32 v18, vcc_lo, s21, v7, vcc_lo
	v_add_co_u32 v4, vcc_lo, v9, v4
	s_delay_alu instid0(VALU_DEP_4)
	v_add_co_ci_u32_e32 v5, vcc_lo, v19, v5, vcc_lo
	v_cmpx_gt_i32_e64 s18, v8
	s_cbranch_execz .LBB10_83
; %bb.80:
	s_delay_alu instid0(VALU_DEP_2)
	v_dual_mov_b32 v7, v5 :: v_dual_mov_b32 v6, v4
	s_and_not1_b32 vcc_lo, exec_lo, s2
	s_cbranch_vccnz .LBB10_82
; %bb.81:
	v_mad_u64_u32 v[6:7], null, v8, s22, 0
	s_delay_alu instid0(VALU_DEP_1) | instskip(NEXT) | instid1(VALU_DEP_1)
	v_mad_u64_u32 v[12:13], null, v8, s23, v[7:8]
	v_mov_b32_e32 v7, v12
	s_delay_alu instid0(VALU_DEP_1) | instskip(NEXT) | instid1(VALU_DEP_1)
	v_lshlrev_b64 v[6:7], 4, v[6:7]
	v_add_co_u32 v6, vcc_lo, v17, v6
	s_delay_alu instid0(VALU_DEP_2) | instskip(NEXT) | instid1(VALU_DEP_2)
	v_add_co_ci_u32_e32 v7, vcc_lo, v18, v7, vcc_lo
	v_add_co_u32 v6, vcc_lo, 0x800, v6
	s_delay_alu instid0(VALU_DEP_2)
	v_add_co_ci_u32_e32 v7, vcc_lo, 0, v7, vcc_lo
.LBB10_82:
	global_load_b128 v[20:23], v[6:7], off
	s_waitcnt vmcnt(0)
	v_cmp_neq_f64_e32 vcc_lo, 0, v[20:21]
	v_cmp_neq_f64_e64 s0, 0, v[22:23]
	s_delay_alu instid0(VALU_DEP_1)
	s_or_b32 vcc_lo, vcc_lo, s0
	v_add_co_ci_u32_e32 v2, vcc_lo, 0, v2, vcc_lo
.LBB10_83:
	s_or_b32 exec_lo, exec_lo, s4
	v_or_b32_e32 v20, 1, v8
	s_mov_b32 s4, exec_lo
	s_delay_alu instid0(VALU_DEP_1)
	v_cmpx_gt_i32_e64 s18, v20
	s_cbranch_execz .LBB10_89
; %bb.84:
	s_and_not1_b32 vcc_lo, exec_lo, s1
	s_cbranch_vccnz .LBB10_86
; %bb.85:
	v_add_co_u32 v6, vcc_lo, v4, 16
	v_add_co_ci_u32_e32 v7, vcc_lo, 0, v5, vcc_lo
	v_add_co_u32 v12, vcc_lo, v4, 24
	v_add_co_ci_u32_e32 v13, vcc_lo, 0, v5, vcc_lo
	s_cbranch_execz .LBB10_87
	s_branch .LBB10_88
.LBB10_86:
                                        ; implicit-def: $vgpr6_vgpr7
                                        ; implicit-def: $vgpr12_vgpr13
.LBB10_87:
	v_mad_u64_u32 v[6:7], null, v20, s22, 0
	s_delay_alu instid0(VALU_DEP_1) | instskip(NEXT) | instid1(VALU_DEP_1)
	v_mad_u64_u32 v[12:13], null, v20, s23, v[7:8]
	v_mov_b32_e32 v7, v12
	s_delay_alu instid0(VALU_DEP_1) | instskip(NEXT) | instid1(VALU_DEP_1)
	v_lshlrev_b64 v[6:7], 4, v[6:7]
	v_add_co_u32 v12, vcc_lo, v17, v6
	s_delay_alu instid0(VALU_DEP_2) | instskip(NEXT) | instid1(VALU_DEP_2)
	v_add_co_ci_u32_e32 v13, vcc_lo, v18, v7, vcc_lo
	v_add_co_u32 v6, vcc_lo, 0x800, v12
	s_delay_alu instid0(VALU_DEP_2)
	v_add_co_ci_u32_e32 v7, vcc_lo, 0, v13, vcc_lo
	v_add_co_u32 v12, vcc_lo, 0x808, v12
	v_add_co_ci_u32_e32 v13, vcc_lo, 0, v13, vcc_lo
.LBB10_88:
	global_load_b64 v[6:7], v[6:7], off
	global_load_b64 v[12:13], v[12:13], off
	s_waitcnt vmcnt(1)
	v_cmp_neq_f64_e32 vcc_lo, 0, v[6:7]
	s_waitcnt vmcnt(0)
	v_cmp_neq_f64_e64 s0, 0, v[12:13]
	s_delay_alu instid0(VALU_DEP_1)
	s_or_b32 vcc_lo, vcc_lo, s0
	v_add_co_ci_u32_e32 v2, vcc_lo, 0, v2, vcc_lo
.LBB10_89:
	s_or_b32 exec_lo, exec_lo, s4
	v_or_b32_e32 v20, 2, v8
	s_mov_b32 s4, exec_lo
	s_delay_alu instid0(VALU_DEP_1)
	v_cmpx_gt_i32_e64 s18, v20
	s_cbranch_execz .LBB10_95
; %bb.90:
	s_and_not1_b32 vcc_lo, exec_lo, s1
	s_cbranch_vccnz .LBB10_92
; %bb.91:
	v_add_co_u32 v6, vcc_lo, v4, 32
	v_add_co_ci_u32_e32 v7, vcc_lo, 0, v5, vcc_lo
	v_add_co_u32 v12, vcc_lo, v4, 40
	v_add_co_ci_u32_e32 v13, vcc_lo, 0, v5, vcc_lo
	s_cbranch_execz .LBB10_93
	s_branch .LBB10_94
.LBB10_92:
                                        ; implicit-def: $vgpr6_vgpr7
                                        ; implicit-def: $vgpr12_vgpr13
.LBB10_93:
	v_mad_u64_u32 v[6:7], null, v20, s22, 0
	s_delay_alu instid0(VALU_DEP_1) | instskip(NEXT) | instid1(VALU_DEP_1)
	v_mad_u64_u32 v[12:13], null, v20, s23, v[7:8]
	v_mov_b32_e32 v7, v12
	s_delay_alu instid0(VALU_DEP_1) | instskip(NEXT) | instid1(VALU_DEP_1)
	v_lshlrev_b64 v[6:7], 4, v[6:7]
	v_add_co_u32 v12, vcc_lo, v17, v6
	s_delay_alu instid0(VALU_DEP_2) | instskip(NEXT) | instid1(VALU_DEP_2)
	v_add_co_ci_u32_e32 v13, vcc_lo, v18, v7, vcc_lo
	v_add_co_u32 v6, vcc_lo, 0x800, v12
	s_delay_alu instid0(VALU_DEP_2)
	v_add_co_ci_u32_e32 v7, vcc_lo, 0, v13, vcc_lo
	v_add_co_u32 v12, vcc_lo, 0x808, v12
	v_add_co_ci_u32_e32 v13, vcc_lo, 0, v13, vcc_lo
.LBB10_94:
	global_load_b64 v[6:7], v[6:7], off
	global_load_b64 v[12:13], v[12:13], off
	s_waitcnt vmcnt(1)
	v_cmp_neq_f64_e32 vcc_lo, 0, v[6:7]
	s_waitcnt vmcnt(0)
	v_cmp_neq_f64_e64 s0, 0, v[12:13]
	s_delay_alu instid0(VALU_DEP_1)
	s_or_b32 vcc_lo, vcc_lo, s0
	v_add_co_ci_u32_e32 v2, vcc_lo, 0, v2, vcc_lo
.LBB10_95:
	s_or_b32 exec_lo, exec_lo, s4
	v_or_b32_e32 v12, 3, v8
	s_mov_b32 s4, exec_lo
	s_delay_alu instid0(VALU_DEP_1)
	v_cmpx_gt_i32_e64 s18, v12
	s_cbranch_execz .LBB10_101
; %bb.96:
	s_and_not1_b32 vcc_lo, exec_lo, s1
	s_cbranch_vccnz .LBB10_98
; %bb.97:
	v_add_co_u32 v6, vcc_lo, v4, 48
	v_add_co_ci_u32_e32 v7, vcc_lo, 0, v5, vcc_lo
	v_add_co_u32 v4, vcc_lo, v4, 56
	v_add_co_ci_u32_e32 v5, vcc_lo, 0, v5, vcc_lo
	s_cbranch_execz .LBB10_99
	s_branch .LBB10_100
.LBB10_98:
                                        ; implicit-def: $vgpr6_vgpr7
                                        ; implicit-def: $vgpr4_vgpr5
.LBB10_99:
	v_mad_u64_u32 v[4:5], null, v12, s22, 0
	s_delay_alu instid0(VALU_DEP_1) | instskip(NEXT) | instid1(VALU_DEP_1)
	v_mad_u64_u32 v[6:7], null, v12, s23, v[5:6]
	v_mov_b32_e32 v5, v6
	s_delay_alu instid0(VALU_DEP_1) | instskip(NEXT) | instid1(VALU_DEP_1)
	v_lshlrev_b64 v[4:5], 4, v[4:5]
	v_add_co_u32 v4, vcc_lo, v17, v4
	s_delay_alu instid0(VALU_DEP_2) | instskip(NEXT) | instid1(VALU_DEP_2)
	v_add_co_ci_u32_e32 v5, vcc_lo, v18, v5, vcc_lo
	v_add_co_u32 v6, vcc_lo, 0x800, v4
	s_delay_alu instid0(VALU_DEP_2)
	v_add_co_ci_u32_e32 v7, vcc_lo, 0, v5, vcc_lo
	v_add_co_u32 v4, vcc_lo, 0x808, v4
	v_add_co_ci_u32_e32 v5, vcc_lo, 0, v5, vcc_lo
.LBB10_100:
	global_load_b64 v[6:7], v[6:7], off
	global_load_b64 v[4:5], v[4:5], off
	s_waitcnt vmcnt(1)
	v_cmp_neq_f64_e32 vcc_lo, 0, v[6:7]
	s_waitcnt vmcnt(0)
	v_cmp_neq_f64_e64 s0, 0, v[4:5]
	s_delay_alu instid0(VALU_DEP_1)
	s_or_b32 vcc_lo, vcc_lo, s0
	v_add_co_ci_u32_e32 v2, vcc_lo, 0, v2, vcc_lo
.LBB10_101:
	s_or_b32 exec_lo, exec_lo, s4
	s_delay_alu instid0(SALU_CYCLE_1) | instskip(NEXT) | instid1(SALU_CYCLE_1)
	s_or_b32 exec_lo, exec_lo, s3
	s_mov_b32 s3, exec_lo
	v_cmpx_gt_i32_e64 s17, v16
	s_cbranch_execz .LBB10_125
.LBB10_102:
	v_ashrrev_i32_e32 v6, 31, v16
	v_mul_lo_u32 v7, v16, s23
	v_mad_u64_u32 v[4:5], null, v16, s22, 0
	s_mov_b32 s4, exec_lo
	s_delay_alu instid0(VALU_DEP_3) | instskip(NEXT) | instid1(VALU_DEP_1)
	v_mul_lo_u32 v6, v6, s22
	v_add3_u32 v5, v5, v7, v6
	v_lshlrev_b64 v[6:7], 4, v[10:11]
	s_delay_alu instid0(VALU_DEP_2) | instskip(NEXT) | instid1(VALU_DEP_2)
	v_lshlrev_b64 v[4:5], 4, v[4:5]
	v_add_co_u32 v11, vcc_lo, s20, v6
	s_delay_alu instid0(VALU_DEP_3) | instskip(NEXT) | instid1(VALU_DEP_3)
	v_add_co_ci_u32_e32 v12, vcc_lo, s21, v7, vcc_lo
	v_add_co_u32 v4, vcc_lo, v9, v4
	s_delay_alu instid0(VALU_DEP_4)
	v_add_co_ci_u32_e32 v5, vcc_lo, v19, v5, vcc_lo
	v_cmpx_gt_i32_e64 s18, v8
	s_cbranch_execz .LBB10_106
; %bb.103:
	s_delay_alu instid0(VALU_DEP_2)
	v_dual_mov_b32 v7, v5 :: v_dual_mov_b32 v6, v4
	s_and_not1_b32 vcc_lo, exec_lo, s2
	s_cbranch_vccnz .LBB10_105
; %bb.104:
	v_mad_u64_u32 v[6:7], null, v8, s22, 0
	s_delay_alu instid0(VALU_DEP_1) | instskip(NEXT) | instid1(VALU_DEP_1)
	v_mad_u64_u32 v[9:10], null, v8, s23, v[7:8]
	v_mov_b32_e32 v7, v9
	s_delay_alu instid0(VALU_DEP_1) | instskip(NEXT) | instid1(VALU_DEP_1)
	v_lshlrev_b64 v[6:7], 4, v[6:7]
	v_add_co_u32 v6, vcc_lo, v11, v6
	s_delay_alu instid0(VALU_DEP_2) | instskip(NEXT) | instid1(VALU_DEP_2)
	v_add_co_ci_u32_e32 v7, vcc_lo, v12, v7, vcc_lo
	v_add_co_u32 v6, vcc_lo, 0xc00, v6
	s_delay_alu instid0(VALU_DEP_2)
	v_add_co_ci_u32_e32 v7, vcc_lo, 0, v7, vcc_lo
.LBB10_105:
	global_load_b128 v[16:19], v[6:7], off
	s_waitcnt vmcnt(0)
	v_cmp_neq_f64_e32 vcc_lo, 0, v[16:17]
	v_cmp_neq_f64_e64 s0, 0, v[18:19]
	s_delay_alu instid0(VALU_DEP_1)
	s_or_b32 vcc_lo, vcc_lo, s0
	v_add_co_ci_u32_e32 v3, vcc_lo, 0, v3, vcc_lo
.LBB10_106:
	s_or_b32 exec_lo, exec_lo, s4
	v_or_b32_e32 v16, 1, v8
	v_cndmask_b32_e64 v13, 0, 1, s1
	s_mov_b32 s2, exec_lo
	s_delay_alu instid0(VALU_DEP_2)
	v_cmpx_gt_i32_e64 s18, v16
	s_cbranch_execz .LBB10_112
; %bb.107:
	s_and_not1_b32 vcc_lo, exec_lo, s1
	s_cbranch_vccnz .LBB10_109
; %bb.108:
	v_add_co_u32 v6, vcc_lo, v4, 16
	v_add_co_ci_u32_e32 v7, vcc_lo, 0, v5, vcc_lo
	v_add_co_u32 v9, vcc_lo, v4, 24
	v_add_co_ci_u32_e32 v10, vcc_lo, 0, v5, vcc_lo
	s_cbranch_execz .LBB10_110
	s_branch .LBB10_111
.LBB10_109:
                                        ; implicit-def: $vgpr6_vgpr7
                                        ; implicit-def: $vgpr9_vgpr10
.LBB10_110:
	v_mad_u64_u32 v[6:7], null, v16, s22, 0
	s_delay_alu instid0(VALU_DEP_1) | instskip(NEXT) | instid1(VALU_DEP_1)
	v_mad_u64_u32 v[9:10], null, v16, s23, v[7:8]
	v_mov_b32_e32 v7, v9
	s_delay_alu instid0(VALU_DEP_1) | instskip(NEXT) | instid1(VALU_DEP_1)
	v_lshlrev_b64 v[6:7], 4, v[6:7]
	v_add_co_u32 v9, vcc_lo, v11, v6
	s_delay_alu instid0(VALU_DEP_2) | instskip(NEXT) | instid1(VALU_DEP_2)
	v_add_co_ci_u32_e32 v10, vcc_lo, v12, v7, vcc_lo
	v_add_co_u32 v6, vcc_lo, 0xc00, v9
	s_delay_alu instid0(VALU_DEP_2)
	v_add_co_ci_u32_e32 v7, vcc_lo, 0, v10, vcc_lo
	v_add_co_u32 v9, vcc_lo, 0xc08, v9
	v_add_co_ci_u32_e32 v10, vcc_lo, 0, v10, vcc_lo
.LBB10_111:
	global_load_b64 v[6:7], v[6:7], off
	global_load_b64 v[9:10], v[9:10], off
	s_waitcnt vmcnt(1)
	v_cmp_neq_f64_e32 vcc_lo, 0, v[6:7]
	s_waitcnt vmcnt(0)
	v_cmp_neq_f64_e64 s0, 0, v[9:10]
	s_delay_alu instid0(VALU_DEP_1)
	s_or_b32 vcc_lo, vcc_lo, s0
	v_add_co_ci_u32_e32 v3, vcc_lo, 0, v3, vcc_lo
.LBB10_112:
	s_or_b32 exec_lo, exec_lo, s2
	v_or_b32_e32 v16, 2, v8
	s_mov_b32 s1, exec_lo
	s_delay_alu instid0(VALU_DEP_1)
	v_cmpx_gt_i32_e64 s18, v16
	s_cbranch_execz .LBB10_118
; %bb.113:
	v_cmp_ne_u32_e32 vcc_lo, 1, v13
	s_cbranch_vccnz .LBB10_115
; %bb.114:
	v_add_co_u32 v6, vcc_lo, v4, 32
	v_add_co_ci_u32_e32 v7, vcc_lo, 0, v5, vcc_lo
	v_add_co_u32 v9, vcc_lo, v4, 40
	v_add_co_ci_u32_e32 v10, vcc_lo, 0, v5, vcc_lo
	s_cbranch_execz .LBB10_116
	s_branch .LBB10_117
.LBB10_115:
                                        ; implicit-def: $vgpr6_vgpr7
                                        ; implicit-def: $vgpr9_vgpr10
.LBB10_116:
	v_mad_u64_u32 v[6:7], null, v16, s22, 0
	s_delay_alu instid0(VALU_DEP_1) | instskip(NEXT) | instid1(VALU_DEP_1)
	v_mad_u64_u32 v[9:10], null, v16, s23, v[7:8]
	v_mov_b32_e32 v7, v9
	s_delay_alu instid0(VALU_DEP_1) | instskip(NEXT) | instid1(VALU_DEP_1)
	v_lshlrev_b64 v[6:7], 4, v[6:7]
	v_add_co_u32 v9, vcc_lo, v11, v6
	s_delay_alu instid0(VALU_DEP_2) | instskip(NEXT) | instid1(VALU_DEP_2)
	v_add_co_ci_u32_e32 v10, vcc_lo, v12, v7, vcc_lo
	v_add_co_u32 v6, vcc_lo, 0xc00, v9
	s_delay_alu instid0(VALU_DEP_2)
	v_add_co_ci_u32_e32 v7, vcc_lo, 0, v10, vcc_lo
	v_add_co_u32 v9, vcc_lo, 0xc08, v9
	v_add_co_ci_u32_e32 v10, vcc_lo, 0, v10, vcc_lo
.LBB10_117:
	global_load_b64 v[6:7], v[6:7], off
	global_load_b64 v[9:10], v[9:10], off
	s_waitcnt vmcnt(1)
	v_cmp_neq_f64_e32 vcc_lo, 0, v[6:7]
	s_waitcnt vmcnt(0)
	v_cmp_neq_f64_e64 s0, 0, v[9:10]
	s_delay_alu instid0(VALU_DEP_1)
	s_or_b32 vcc_lo, vcc_lo, s0
	v_add_co_ci_u32_e32 v3, vcc_lo, 0, v3, vcc_lo
.LBB10_118:
	s_or_b32 exec_lo, exec_lo, s1
	v_or_b32_e32 v8, 3, v8
	s_mov_b32 s1, exec_lo
	s_delay_alu instid0(VALU_DEP_1)
	v_cmpx_gt_i32_e64 s18, v8
	s_cbranch_execz .LBB10_124
; %bb.119:
	v_cmp_ne_u32_e32 vcc_lo, 1, v13
	s_cbranch_vccnz .LBB10_121
; %bb.120:
	v_add_co_u32 v6, vcc_lo, v4, 48
	v_add_co_ci_u32_e32 v7, vcc_lo, 0, v5, vcc_lo
	v_add_co_u32 v4, vcc_lo, v4, 56
	v_add_co_ci_u32_e32 v5, vcc_lo, 0, v5, vcc_lo
	s_cbranch_execz .LBB10_122
	s_branch .LBB10_123
.LBB10_121:
                                        ; implicit-def: $vgpr6_vgpr7
                                        ; implicit-def: $vgpr4_vgpr5
.LBB10_122:
	v_mad_u64_u32 v[4:5], null, v8, s22, 0
	s_delay_alu instid0(VALU_DEP_1) | instskip(NEXT) | instid1(VALU_DEP_1)
	v_mad_u64_u32 v[6:7], null, v8, s23, v[5:6]
	v_mov_b32_e32 v5, v6
	s_delay_alu instid0(VALU_DEP_1) | instskip(NEXT) | instid1(VALU_DEP_1)
	v_lshlrev_b64 v[4:5], 4, v[4:5]
	v_add_co_u32 v4, vcc_lo, v11, v4
	s_delay_alu instid0(VALU_DEP_2) | instskip(NEXT) | instid1(VALU_DEP_2)
	v_add_co_ci_u32_e32 v5, vcc_lo, v12, v5, vcc_lo
	v_add_co_u32 v6, vcc_lo, 0xc00, v4
	s_delay_alu instid0(VALU_DEP_2)
	v_add_co_ci_u32_e32 v7, vcc_lo, 0, v5, vcc_lo
	v_add_co_u32 v4, vcc_lo, 0xc08, v4
	v_add_co_ci_u32_e32 v5, vcc_lo, 0, v5, vcc_lo
.LBB10_123:
	global_load_b64 v[6:7], v[6:7], off
	global_load_b64 v[4:5], v[4:5], off
	s_waitcnt vmcnt(1)
	v_cmp_neq_f64_e32 vcc_lo, 0, v[6:7]
	s_waitcnt vmcnt(0)
	v_cmp_neq_f64_e64 s0, 0, v[4:5]
	s_delay_alu instid0(VALU_DEP_1)
	s_or_b32 vcc_lo, vcc_lo, s0
	v_add_co_ci_u32_e32 v3, vcc_lo, 0, v3, vcc_lo
.LBB10_124:
	s_or_b32 exec_lo, exec_lo, s1
.LBB10_125:
	s_delay_alu instid0(SALU_CYCLE_1)
	s_or_b32 exec_lo, exec_lo, s3
.LBB10_126:
	v_lshlrev_b32_e32 v4, 2, v14
	s_mov_b32 s0, exec_lo
	s_delay_alu instid0(VALU_DEP_1) | instskip(NEXT) | instid1(VALU_DEP_1)
	v_and_or_b32 v5, 0x1fffff00, v4, v15
	v_lshlrev_b32_e32 v5, 2, v5
	ds_store_2addr_stride64_b32 v5, v0, v1 offset1:1
	ds_store_2addr_stride64_b32 v5, v2, v3 offset0:2 offset1:3
	s_waitcnt lgkmcnt(0)
	s_barrier
	buffer_gl0_inv
	v_cmpx_gt_u32_e32 0x100, v14
	s_cbranch_execz .LBB10_129
; %bb.127:
	ds_load_2addr_stride64_b32 v[0:1], v4 offset1:4
	ds_load_2addr_stride64_b32 v[2:3], v4 offset0:8 offset1:12
	ds_load_2addr_stride64_b32 v[5:6], v4 offset0:16 offset1:20
	;; [unrolled: 1-line block ×3, first 2 shown]
	s_waitcnt lgkmcnt(3)
	v_add_nc_u32_e32 v9, v0, v1
	ds_load_2addr_stride64_b32 v[0:1], v4 offset0:32 offset1:36
	s_waitcnt lgkmcnt(3)
	v_add3_u32 v9, v9, v2, v3
	ds_load_2addr_stride64_b32 v[2:3], v4 offset0:40 offset1:44
	s_waitcnt lgkmcnt(3)
	v_add3_u32 v9, v9, v5, v6
	;; [unrolled: 3-line block ×4, first 2 shown]
	s_waitcnt lgkmcnt(2)
	s_delay_alu instid0(VALU_DEP_1) | instskip(SKIP_1) | instid1(VALU_DEP_1)
	v_add3_u32 v0, v0, v2, v3
	s_waitcnt lgkmcnt(1)
	v_add3_u32 v1, v0, v5, v6
	v_add_nc_u32_e32 v0, s11, v14
	s_waitcnt lgkmcnt(0)
	s_delay_alu instid0(VALU_DEP_2) | instskip(NEXT) | instid1(VALU_DEP_2)
	v_add3_u32 v2, v1, v7, v8
	v_cmp_gt_i32_e32 vcc_lo, s17, v0
	ds_store_b32 v4, v2
	s_and_b32 exec_lo, exec_lo, vcc_lo
	s_cbranch_execz .LBB10_129
; %bb.128:
	v_ashrrev_i32_e32 v1, 31, v0
	s_delay_alu instid0(VALU_DEP_1) | instskip(NEXT) | instid1(VALU_DEP_1)
	v_lshlrev_b64 v[0:1], 2, v[0:1]
	v_add_co_u32 v0, vcc_lo, s24, v0
	s_delay_alu instid0(VALU_DEP_2)
	v_add_co_ci_u32_e32 v1, vcc_lo, s25, v1, vcc_lo
	global_store_b32 v[0:1], v2, off
.LBB10_129:
	s_nop 0
	s_sendmsg sendmsg(MSG_DEALLOC_VGPRS)
	s_endpgm
	.section	.rodata,"a",@progbits
	.p2align	6, 0x0
	.amdhsa_kernel _ZN9rocsparseL14nnz_kernel_rowILi64ELi16Eii21rocsparse_complex_numIdEEEv16rocsparse_order_T2_S4_PKT3_lPT1_
		.amdhsa_group_segment_fixed_size 16384
		.amdhsa_private_segment_fixed_size 0
		.amdhsa_kernarg_size 296
		.amdhsa_user_sgpr_count 15
		.amdhsa_user_sgpr_dispatch_ptr 0
		.amdhsa_user_sgpr_queue_ptr 0
		.amdhsa_user_sgpr_kernarg_segment_ptr 1
		.amdhsa_user_sgpr_dispatch_id 0
		.amdhsa_user_sgpr_private_segment_size 0
		.amdhsa_wavefront_size32 1
		.amdhsa_uses_dynamic_stack 0
		.amdhsa_enable_private_segment 0
		.amdhsa_system_sgpr_workgroup_id_x 1
		.amdhsa_system_sgpr_workgroup_id_y 0
		.amdhsa_system_sgpr_workgroup_id_z 0
		.amdhsa_system_sgpr_workgroup_info 0
		.amdhsa_system_vgpr_workitem_id 1
		.amdhsa_next_free_vgpr 44
		.amdhsa_next_free_sgpr 28
		.amdhsa_reserve_vcc 1
		.amdhsa_float_round_mode_32 0
		.amdhsa_float_round_mode_16_64 0
		.amdhsa_float_denorm_mode_32 3
		.amdhsa_float_denorm_mode_16_64 3
		.amdhsa_dx10_clamp 1
		.amdhsa_ieee_mode 1
		.amdhsa_fp16_overflow 0
		.amdhsa_workgroup_processor_mode 1
		.amdhsa_memory_ordered 1
		.amdhsa_forward_progress 0
		.amdhsa_shared_vgpr_count 0
		.amdhsa_exception_fp_ieee_invalid_op 0
		.amdhsa_exception_fp_denorm_src 0
		.amdhsa_exception_fp_ieee_div_zero 0
		.amdhsa_exception_fp_ieee_overflow 0
		.amdhsa_exception_fp_ieee_underflow 0
		.amdhsa_exception_fp_ieee_inexact 0
		.amdhsa_exception_int_div_zero 0
	.end_amdhsa_kernel
	.section	.text._ZN9rocsparseL14nnz_kernel_rowILi64ELi16Eii21rocsparse_complex_numIdEEEv16rocsparse_order_T2_S4_PKT3_lPT1_,"axG",@progbits,_ZN9rocsparseL14nnz_kernel_rowILi64ELi16Eii21rocsparse_complex_numIdEEEv16rocsparse_order_T2_S4_PKT3_lPT1_,comdat
.Lfunc_end10:
	.size	_ZN9rocsparseL14nnz_kernel_rowILi64ELi16Eii21rocsparse_complex_numIdEEEv16rocsparse_order_T2_S4_PKT3_lPT1_, .Lfunc_end10-_ZN9rocsparseL14nnz_kernel_rowILi64ELi16Eii21rocsparse_complex_numIdEEEv16rocsparse_order_T2_S4_PKT3_lPT1_
                                        ; -- End function
	.section	.AMDGPU.csdata,"",@progbits
; Kernel info:
; codeLenInByte = 6748
; NumSgprs: 30
; NumVgprs: 44
; ScratchSize: 0
; MemoryBound: 0
; FloatMode: 240
; IeeeMode: 1
; LDSByteSize: 16384 bytes/workgroup (compile time only)
; SGPRBlocks: 3
; VGPRBlocks: 5
; NumSGPRsForWavesPerEU: 30
; NumVGPRsForWavesPerEU: 44
; Occupancy: 16
; WaveLimiterHint : 0
; COMPUTE_PGM_RSRC2:SCRATCH_EN: 0
; COMPUTE_PGM_RSRC2:USER_SGPR: 15
; COMPUTE_PGM_RSRC2:TRAP_HANDLER: 0
; COMPUTE_PGM_RSRC2:TGID_X_EN: 1
; COMPUTE_PGM_RSRC2:TGID_Y_EN: 0
; COMPUTE_PGM_RSRC2:TGID_Z_EN: 0
; COMPUTE_PGM_RSRC2:TIDIG_COMP_CNT: 1
	.section	.text._ZN9rocsparseL14nnz_kernel_colILi256Eii21rocsparse_complex_numIdEEEv16rocsparse_order_T1_S4_PKT2_lPT0_,"axG",@progbits,_ZN9rocsparseL14nnz_kernel_colILi256Eii21rocsparse_complex_numIdEEEv16rocsparse_order_T1_S4_PKT2_lPT0_,comdat
	.globl	_ZN9rocsparseL14nnz_kernel_colILi256Eii21rocsparse_complex_numIdEEEv16rocsparse_order_T1_S4_PKT2_lPT0_ ; -- Begin function _ZN9rocsparseL14nnz_kernel_colILi256Eii21rocsparse_complex_numIdEEEv16rocsparse_order_T1_S4_PKT2_lPT0_
	.p2align	8
	.type	_ZN9rocsparseL14nnz_kernel_colILi256Eii21rocsparse_complex_numIdEEEv16rocsparse_order_T1_S4_PKT2_lPT0_,@function
_ZN9rocsparseL14nnz_kernel_colILi256Eii21rocsparse_complex_numIdEEEv16rocsparse_order_T1_S4_PKT2_lPT0_: ; @_ZN9rocsparseL14nnz_kernel_colILi256Eii21rocsparse_complex_numIdEEEv16rocsparse_order_T1_S4_PKT2_lPT0_
; %bb.0:
	s_clause 0x1
	s_load_b64 s[10:11], s[0:1], 0x0
	s_load_b128 s[4:7], s[0:1], 0x10
	s_mov_b32 s8, s15
	s_waitcnt lgkmcnt(0)
	s_ashr_i32 s2, s11, 31
	s_delay_alu instid0(SALU_CYCLE_1) | instskip(NEXT) | instid1(SALU_CYCLE_1)
	s_lshr_b32 s2, s2, 24
	s_add_i32 s2, s11, s2
	s_delay_alu instid0(SALU_CYCLE_1)
	s_and_b32 s12, s2, 0xffffff00
	s_cmp_eq_u32 s10, 1
	s_cbranch_scc1 .LBB11_6
; %bb.1:
	v_mov_b32_e32 v3, 0
	s_cmpk_lt_i32 s11, 0x100
	s_cbranch_scc1 .LBB11_7
; %bb.2:
	v_mad_u64_u32 v[1:2], null, s6, v0, 0
	s_ashr_i32 s9, s8, 31
	s_delay_alu instid0(SALU_CYCLE_1) | instskip(NEXT) | instid1(SALU_CYCLE_1)
	s_lshl_b64 s[2:3], s[8:9], 4
	s_add_u32 s2, s4, s2
	s_addc_u32 s3, s5, s3
	s_delay_alu instid0(VALU_DEP_1) | instskip(SKIP_1) | instid1(VALU_DEP_1)
	v_mad_u64_u32 v[3:4], null, s7, v0, v[2:3]
	s_lshl_b64 s[14:15], s[6:7], 12
	v_dual_mov_b32 v2, v3 :: v_dual_mov_b32 v3, 0
	s_delay_alu instid0(VALU_DEP_1) | instskip(NEXT) | instid1(VALU_DEP_1)
	v_lshlrev_b64 v[1:2], 4, v[1:2]
	v_add_co_u32 v1, vcc_lo, s2, v1
	s_delay_alu instid0(VALU_DEP_2) | instskip(SKIP_1) | instid1(VALU_DEP_2)
	v_add_co_ci_u32_e32 v2, vcc_lo, s3, v2, vcc_lo
	s_mov_b32 s3, 0
	v_add_co_u32 v1, vcc_lo, v1, 8
	s_delay_alu instid0(VALU_DEP_2)
	v_add_co_ci_u32_e32 v2, vcc_lo, 0, v2, vcc_lo
	s_branch .LBB11_4
	.p2align	6
.LBB11_3:                               ;   in Loop: Header=BB11_4 Depth=1
	s_or_b32 exec_lo, exec_lo, s9
	v_add_co_u32 v1, vcc_lo, v1, s14
	v_add_co_ci_u32_e32 v2, vcc_lo, s15, v2, vcc_lo
	s_addk_i32 s3, 0x100
	s_delay_alu instid0(SALU_CYCLE_1)
	s_cmp_ge_i32 s3, s12
	s_cbranch_scc1 .LBB11_7
.LBB11_4:                               ; =>This Inner Loop Header: Depth=1
	v_add_nc_u32_e32 v4, s3, v0
	s_mov_b32 s9, exec_lo
	s_delay_alu instid0(VALU_DEP_1)
	v_cmpx_gt_i32_e64 s11, v4
	s_cbranch_execz .LBB11_3
; %bb.5:                                ;   in Loop: Header=BB11_4 Depth=1
	global_load_b128 v[4:7], v[1:2], off offset:-8
	s_waitcnt vmcnt(0)
	v_cmp_neq_f64_e32 vcc_lo, 0, v[4:5]
	v_cmp_neq_f64_e64 s2, 0, v[6:7]
	s_delay_alu instid0(VALU_DEP_1)
	s_or_b32 vcc_lo, vcc_lo, s2
	v_add_co_ci_u32_e32 v3, vcc_lo, 0, v3, vcc_lo
	s_branch .LBB11_3
.LBB11_6:
	s_mov_b32 s10, 0
                                        ; implicit-def: $vgpr3
                                        ; implicit-def: $vgpr1_vgpr2
	s_cbranch_execnz .LBB11_10
	s_branch .LBB11_16
.LBB11_7:
	v_add_nc_u32_e32 v4, s12, v0
	s_mov_b32 s2, 0
	s_mov_b32 s10, 0
	s_mov_b32 s3, exec_lo
                                        ; implicit-def: $vgpr1_vgpr2
	s_delay_alu instid0(VALU_DEP_1)
	v_cmpx_gt_i32_e64 s11, v4
	s_xor_b32 s3, exec_lo, s3
	s_cbranch_execz .LBB11_9
; %bb.8:
	v_ashrrev_i32_e32 v5, 31, v4
	v_mul_lo_u32 v6, v4, s7
	v_mad_u64_u32 v[1:2], null, v4, s6, 0
	s_ashr_i32 s9, s8, 31
	s_delay_alu instid0(VALU_DEP_3) | instskip(SKIP_4) | instid1(VALU_DEP_1)
	v_mul_lo_u32 v4, v5, s6
	s_lshl_b64 s[14:15], s[8:9], 4
	s_mov_b32 s10, exec_lo
	s_add_u32 s9, s14, s4
	s_addc_u32 s13, s15, s5
	v_add3_u32 v2, v2, v6, v4
	s_delay_alu instid0(VALU_DEP_1) | instskip(NEXT) | instid1(VALU_DEP_1)
	v_lshlrev_b64 v[1:2], 4, v[1:2]
	v_add_co_u32 v1, vcc_lo, s9, v1
	s_delay_alu instid0(VALU_DEP_2)
	v_add_co_ci_u32_e32 v2, vcc_lo, s13, v2, vcc_lo
.LBB11_9:
	s_or_b32 exec_lo, exec_lo, s3
	s_delay_alu instid0(SALU_CYCLE_1)
	s_and_b32 vcc_lo, exec_lo, s2
	s_cbranch_vccz .LBB11_16
.LBB11_10:
	v_cmp_gt_i32_e32 vcc_lo, s11, v0
	s_mul_i32 s2, s8, s7
	s_mul_hi_u32 s3, s8, s6
	s_ashr_i32 s7, s8, 31
	s_add_i32 s2, s3, s2
	v_cndmask_b32_e32 v1, 0, v0, vcc_lo
	s_mul_i32 s7, s7, s6
	v_mov_b32_e32 v3, 0
	s_add_i32 s7, s2, s7
	s_mul_i32 s6, s8, s6
	v_lshlrev_b32_e32 v4, 4, v1
	s_cmpk_lt_i32 s11, 0x100
	s_mov_b32 s9, 0
	s_cbranch_scc1 .LBB11_13
; %bb.11:
	s_lshl_b64 s[2:3], s[6:7], 4
	v_mov_b32_e32 v3, 0
	s_add_u32 s2, s4, s2
	s_addc_u32 s3, s5, s3
	v_add_co_u32 v1, s2, s2, v4
	s_delay_alu instid0(VALU_DEP_1) | instskip(NEXT) | instid1(VALU_DEP_2)
	v_add_co_ci_u32_e64 v2, null, s3, 0, s2
	v_add_co_u32 v1, vcc_lo, v1, 8
	s_delay_alu instid0(VALU_DEP_2)
	v_add_co_ci_u32_e32 v2, vcc_lo, 0, v2, vcc_lo
.LBB11_12:                              ; =>This Inner Loop Header: Depth=1
	global_load_b128 v[5:8], v[1:2], off offset:-8
	v_add_co_u32 v1, s3, 0x1000, v1
	s_delay_alu instid0(VALU_DEP_1) | instskip(SKIP_4) | instid1(VALU_DEP_1)
	v_add_co_ci_u32_e64 v2, s3, 0, v2, s3
	s_addk_i32 s9, 0x100
	s_waitcnt vmcnt(0)
	v_cmp_neq_f64_e32 vcc_lo, 0, v[5:6]
	v_cmp_neq_f64_e64 s2, 0, v[7:8]
	s_or_b32 vcc_lo, vcc_lo, s2
	s_cmp_ge_i32 s9, s12
	v_add_co_ci_u32_e32 v3, vcc_lo, 0, v3, vcc_lo
	s_cbranch_scc0 .LBB11_12
.LBB11_13:
	v_add_nc_u32_e32 v1, s12, v0
	s_delay_alu instid0(VALU_DEP_1)
	v_cmp_gt_i32_e32 vcc_lo, s11, v1
                                        ; implicit-def: $vgpr1_vgpr2
	s_and_saveexec_b32 s2, vcc_lo
; %bb.14:
	s_lshl_b64 s[6:7], s[6:7], 4
	s_delay_alu instid0(SALU_CYCLE_1) | instskip(SKIP_2) | instid1(SALU_CYCLE_1)
	s_add_u32 s3, s4, s6
	s_addc_u32 s6, s5, s7
	s_ashr_i32 s13, s12, 31
	s_lshl_b64 s[4:5], s[12:13], 4
	s_delay_alu instid0(SALU_CYCLE_1) | instskip(SKIP_2) | instid1(VALU_DEP_1)
	s_add_u32 s3, s4, s3
	s_addc_u32 s4, s5, s6
	v_add_co_u32 v1, s3, s3, v4
	v_add_co_ci_u32_e64 v2, null, s4, 0, s3
	s_or_b32 s10, s10, exec_lo
; %bb.15:
	s_or_b32 exec_lo, exec_lo, s2
.LBB11_16:
	s_and_saveexec_b32 s3, s10
	s_cbranch_execz .LBB11_18
; %bb.17:
	global_load_b128 v[4:7], v[1:2], off
	s_waitcnt vmcnt(0)
	v_cmp_neq_f64_e32 vcc_lo, 0, v[4:5]
	v_cmp_neq_f64_e64 s2, 0, v[6:7]
	s_delay_alu instid0(VALU_DEP_1)
	s_or_b32 vcc_lo, vcc_lo, s2
	v_add_co_ci_u32_e32 v3, vcc_lo, 0, v3, vcc_lo
.LBB11_18:
	s_or_b32 exec_lo, exec_lo, s3
	v_lshlrev_b32_e32 v1, 2, v0
	v_cmp_eq_u32_e32 vcc_lo, 0, v0
	s_cmpk_lt_i32 s11, 0x100
	s_mov_b32 s2, -1
	ds_store_b32 v1, v3
	s_waitcnt lgkmcnt(0)
	s_cbranch_scc0 .LBB11_29
; %bb.19:
	s_cmp_gt_i32 s11, 1
	s_mov_b32 s4, 1
	s_cselect_b32 s2, -1, 0
	s_barrier
	s_and_b32 s3, vcc_lo, s2
	buffer_gl0_inv
	s_and_saveexec_b32 s2, s3
	s_cbranch_execz .LBB11_28
; %bb.20:
	v_mov_b32_e32 v2, 0
	s_add_i32 s5, s11, -2
	s_add_i32 s3, s11, -1
	s_cmp_lt_u32 s5, 7
	ds_load_b32 v2, v2
	s_cbranch_scc1 .LBB11_24
; %bb.21:
	s_and_b32 s4, s3, -8
	s_mov_b32 s6, 0
	s_mov_b32 s5, 4
	.p2align	6
.LBB11_22:                              ; =>This Inner Loop Header: Depth=1
	s_delay_alu instid0(SALU_CYCLE_1)
	v_mov_b32_e32 v9, s5
	s_mov_b32 s7, s6
	s_add_i32 s6, s6, 8
	s_add_i32 s5, s5, 32
	s_cmp_lg_u32 s4, s6
	ds_load_2addr_b32 v[3:4], v9 offset1:1
	ds_load_2addr_b32 v[5:6], v9 offset0:2 offset1:3
	ds_load_2addr_b32 v[7:8], v9 offset0:4 offset1:5
	;; [unrolled: 1-line block ×3, first 2 shown]
	s_waitcnt lgkmcnt(3)
	v_add_nc_u32_e32 v2, v2, v3
	s_delay_alu instid0(VALU_DEP_1) | instskip(SKIP_1) | instid1(VALU_DEP_1)
	v_add_nc_u32_e32 v2, v2, v4
	s_waitcnt lgkmcnt(2)
	v_add_nc_u32_e32 v2, v2, v5
	s_delay_alu instid0(VALU_DEP_1) | instskip(SKIP_1) | instid1(VALU_DEP_1)
	v_add_nc_u32_e32 v2, v2, v6
	;; [unrolled: 4-line block ×3, first 2 shown]
	s_waitcnt lgkmcnt(0)
	v_add_nc_u32_e32 v2, v2, v9
	s_delay_alu instid0(VALU_DEP_1)
	v_add_nc_u32_e32 v2, v2, v10
	s_cbranch_scc1 .LBB11_22
; %bb.23:
	s_add_i32 s4, s7, 9
.LBB11_24:
	s_and_b32 s3, s3, 7
	s_delay_alu instid0(SALU_CYCLE_1)
	s_cmp_eq_u32 s3, 0
	s_cbranch_scc1 .LBB11_27
; %bb.25:
	s_lshl_b32 s4, s4, 2
.LBB11_26:                              ; =>This Inner Loop Header: Depth=1
	s_delay_alu instid0(SALU_CYCLE_1)
	v_mov_b32_e32 v3, s4
	s_add_i32 s3, s3, -1
	s_add_i32 s4, s4, 4
	s_cmp_lg_u32 s3, 0
	ds_load_b32 v3, v3
	s_waitcnt lgkmcnt(0)
	v_add_nc_u32_e32 v2, v2, v3
	s_cbranch_scc1 .LBB11_26
.LBB11_27:
	v_mov_b32_e32 v3, 0
	s_waitcnt lgkmcnt(0)
	ds_store_b32 v3, v2
.LBB11_28:
	s_or_b32 exec_lo, exec_lo, s2
	s_mov_b32 s2, 0
	s_waitcnt lgkmcnt(0)
	s_barrier
.LBB11_29:
	s_and_b32 vcc_lo, exec_lo, s2
	s_cbranch_vccz .LBB11_47
; %bb.30:
	s_mov_b32 s2, exec_lo
	s_barrier
	buffer_gl0_inv
	v_cmpx_gt_u32_e32 0x80, v0
	s_cbranch_execz .LBB11_32
; %bb.31:
	ds_load_2addr_stride64_b32 v[2:3], v1 offset1:2
	s_waitcnt lgkmcnt(0)
	v_add_nc_u32_e32 v2, v2, v3
	ds_store_b32 v1, v2
.LBB11_32:
	s_or_b32 exec_lo, exec_lo, s2
	s_delay_alu instid0(SALU_CYCLE_1)
	s_mov_b32 s2, exec_lo
	s_waitcnt lgkmcnt(0)
	s_barrier
	buffer_gl0_inv
	v_cmpx_gt_u32_e32 64, v0
	s_cbranch_execz .LBB11_34
; %bb.33:
	ds_load_2addr_stride64_b32 v[2:3], v1 offset1:1
	s_waitcnt lgkmcnt(0)
	v_add_nc_u32_e32 v2, v2, v3
	ds_store_b32 v1, v2
.LBB11_34:
	s_or_b32 exec_lo, exec_lo, s2
	s_delay_alu instid0(SALU_CYCLE_1)
	s_mov_b32 s2, exec_lo
	s_waitcnt lgkmcnt(0)
	s_barrier
	buffer_gl0_inv
	v_cmpx_gt_u32_e32 32, v0
	s_cbranch_execz .LBB11_36
; %bb.35:
	ds_load_2addr_b32 v[2:3], v1 offset1:32
	s_waitcnt lgkmcnt(0)
	v_add_nc_u32_e32 v2, v2, v3
	ds_store_b32 v1, v2
.LBB11_36:
	s_or_b32 exec_lo, exec_lo, s2
	s_delay_alu instid0(SALU_CYCLE_1)
	s_mov_b32 s2, exec_lo
	s_waitcnt lgkmcnt(0)
	s_barrier
	buffer_gl0_inv
	v_cmpx_gt_u32_e32 16, v0
	s_cbranch_execz .LBB11_38
; %bb.37:
	ds_load_2addr_b32 v[2:3], v1 offset1:16
	s_waitcnt lgkmcnt(0)
	v_add_nc_u32_e32 v2, v2, v3
	ds_store_b32 v1, v2
.LBB11_38:
	s_or_b32 exec_lo, exec_lo, s2
	s_delay_alu instid0(SALU_CYCLE_1)
	s_mov_b32 s2, exec_lo
	s_waitcnt lgkmcnt(0)
	s_barrier
	buffer_gl0_inv
	v_cmpx_gt_u32_e32 8, v0
	s_cbranch_execz .LBB11_40
; %bb.39:
	ds_load_2addr_b32 v[2:3], v1 offset1:8
	s_waitcnt lgkmcnt(0)
	v_add_nc_u32_e32 v2, v2, v3
	ds_store_b32 v1, v2
.LBB11_40:
	s_or_b32 exec_lo, exec_lo, s2
	s_delay_alu instid0(SALU_CYCLE_1)
	s_mov_b32 s2, exec_lo
	s_waitcnt lgkmcnt(0)
	s_barrier
	buffer_gl0_inv
	v_cmpx_gt_u32_e32 4, v0
	s_cbranch_execz .LBB11_42
; %bb.41:
	ds_load_2addr_b32 v[2:3], v1 offset1:4
	s_waitcnt lgkmcnt(0)
	v_add_nc_u32_e32 v2, v2, v3
	ds_store_b32 v1, v2
.LBB11_42:
	s_or_b32 exec_lo, exec_lo, s2
	s_delay_alu instid0(SALU_CYCLE_1)
	s_mov_b32 s2, exec_lo
	s_waitcnt lgkmcnt(0)
	s_barrier
	buffer_gl0_inv
	v_cmpx_gt_u32_e32 2, v0
	s_cbranch_execz .LBB11_44
; %bb.43:
	ds_load_2addr_b32 v[2:3], v1 offset1:2
	s_waitcnt lgkmcnt(0)
	v_add_nc_u32_e32 v2, v2, v3
	ds_store_b32 v1, v2
.LBB11_44:
	s_or_b32 exec_lo, exec_lo, s2
	s_delay_alu instid0(SALU_CYCLE_1)
	s_mov_b32 s2, exec_lo
	s_waitcnt lgkmcnt(0)
	s_barrier
	buffer_gl0_inv
	v_cmpx_eq_u32_e32 0, v0
	s_cbranch_execz .LBB11_46
; %bb.45:
	v_mov_b32_e32 v3, 0
	ds_load_b64 v[1:2], v3
	s_waitcnt lgkmcnt(0)
	v_add_nc_u32_e32 v1, v1, v2
	ds_store_b32 v3, v1
.LBB11_46:
	s_or_b32 exec_lo, exec_lo, s2
	s_waitcnt lgkmcnt(0)
	s_barrier
.LBB11_47:
	buffer_gl0_inv
	s_mov_b32 s2, exec_lo
	v_cmpx_eq_u32_e32 0, v0
	s_cbranch_execz .LBB11_49
; %bb.48:
	v_mov_b32_e32 v0, 0
	s_load_b64 s[0:1], s[0:1], 0x20
	s_ashr_i32 s9, s8, 31
	s_delay_alu instid0(SALU_CYCLE_1)
	s_lshl_b64 s[2:3], s[8:9], 2
	ds_load_b32 v1, v0
	s_waitcnt lgkmcnt(0)
	s_add_u32 s0, s0, s2
	s_addc_u32 s1, s1, s3
	global_store_b32 v0, v1, s[0:1]
.LBB11_49:
	s_nop 0
	s_sendmsg sendmsg(MSG_DEALLOC_VGPRS)
	s_endpgm
	.section	.rodata,"a",@progbits
	.p2align	6, 0x0
	.amdhsa_kernel _ZN9rocsparseL14nnz_kernel_colILi256Eii21rocsparse_complex_numIdEEEv16rocsparse_order_T1_S4_PKT2_lPT0_
		.amdhsa_group_segment_fixed_size 1024
		.amdhsa_private_segment_fixed_size 0
		.amdhsa_kernarg_size 40
		.amdhsa_user_sgpr_count 15
		.amdhsa_user_sgpr_dispatch_ptr 0
		.amdhsa_user_sgpr_queue_ptr 0
		.amdhsa_user_sgpr_kernarg_segment_ptr 1
		.amdhsa_user_sgpr_dispatch_id 0
		.amdhsa_user_sgpr_private_segment_size 0
		.amdhsa_wavefront_size32 1
		.amdhsa_uses_dynamic_stack 0
		.amdhsa_enable_private_segment 0
		.amdhsa_system_sgpr_workgroup_id_x 1
		.amdhsa_system_sgpr_workgroup_id_y 0
		.amdhsa_system_sgpr_workgroup_id_z 0
		.amdhsa_system_sgpr_workgroup_info 0
		.amdhsa_system_vgpr_workitem_id 0
		.amdhsa_next_free_vgpr 11
		.amdhsa_next_free_sgpr 16
		.amdhsa_reserve_vcc 1
		.amdhsa_float_round_mode_32 0
		.amdhsa_float_round_mode_16_64 0
		.amdhsa_float_denorm_mode_32 3
		.amdhsa_float_denorm_mode_16_64 3
		.amdhsa_dx10_clamp 1
		.amdhsa_ieee_mode 1
		.amdhsa_fp16_overflow 0
		.amdhsa_workgroup_processor_mode 1
		.amdhsa_memory_ordered 1
		.amdhsa_forward_progress 0
		.amdhsa_shared_vgpr_count 0
		.amdhsa_exception_fp_ieee_invalid_op 0
		.amdhsa_exception_fp_denorm_src 0
		.amdhsa_exception_fp_ieee_div_zero 0
		.amdhsa_exception_fp_ieee_overflow 0
		.amdhsa_exception_fp_ieee_underflow 0
		.amdhsa_exception_fp_ieee_inexact 0
		.amdhsa_exception_int_div_zero 0
	.end_amdhsa_kernel
	.section	.text._ZN9rocsparseL14nnz_kernel_colILi256Eii21rocsparse_complex_numIdEEEv16rocsparse_order_T1_S4_PKT2_lPT0_,"axG",@progbits,_ZN9rocsparseL14nnz_kernel_colILi256Eii21rocsparse_complex_numIdEEEv16rocsparse_order_T1_S4_PKT2_lPT0_,comdat
.Lfunc_end11:
	.size	_ZN9rocsparseL14nnz_kernel_colILi256Eii21rocsparse_complex_numIdEEEv16rocsparse_order_T1_S4_PKT2_lPT0_, .Lfunc_end11-_ZN9rocsparseL14nnz_kernel_colILi256Eii21rocsparse_complex_numIdEEEv16rocsparse_order_T1_S4_PKT2_lPT0_
                                        ; -- End function
	.section	.AMDGPU.csdata,"",@progbits
; Kernel info:
; codeLenInByte = 1636
; NumSgprs: 18
; NumVgprs: 11
; ScratchSize: 0
; MemoryBound: 0
; FloatMode: 240
; IeeeMode: 1
; LDSByteSize: 1024 bytes/workgroup (compile time only)
; SGPRBlocks: 2
; VGPRBlocks: 1
; NumSGPRsForWavesPerEU: 18
; NumVGPRsForWavesPerEU: 11
; Occupancy: 16
; WaveLimiterHint : 0
; COMPUTE_PGM_RSRC2:SCRATCH_EN: 0
; COMPUTE_PGM_RSRC2:USER_SGPR: 15
; COMPUTE_PGM_RSRC2:TRAP_HANDLER: 0
; COMPUTE_PGM_RSRC2:TGID_X_EN: 1
; COMPUTE_PGM_RSRC2:TGID_Y_EN: 0
; COMPUTE_PGM_RSRC2:TGID_Z_EN: 0
; COMPUTE_PGM_RSRC2:TIDIG_COMP_CNT: 0
	.section	.text._ZN9rocsparseL14nnz_kernel_rowILi64ELi16Eli18rocsparse_bfloat16EEv16rocsparse_order_T2_S3_PKT3_lPT1_,"axG",@progbits,_ZN9rocsparseL14nnz_kernel_rowILi64ELi16Eli18rocsparse_bfloat16EEv16rocsparse_order_T2_S3_PKT3_lPT1_,comdat
	.globl	_ZN9rocsparseL14nnz_kernel_rowILi64ELi16Eli18rocsparse_bfloat16EEv16rocsparse_order_T2_S3_PKT3_lPT1_ ; -- Begin function _ZN9rocsparseL14nnz_kernel_rowILi64ELi16Eli18rocsparse_bfloat16EEv16rocsparse_order_T2_S3_PKT3_lPT1_
	.p2align	8
	.type	_ZN9rocsparseL14nnz_kernel_rowILi64ELi16Eli18rocsparse_bfloat16EEv16rocsparse_order_T2_S3_PKT3_lPT1_,@function
_ZN9rocsparseL14nnz_kernel_rowILi64ELi16Eli18rocsparse_bfloat16EEv16rocsparse_order_T2_S3_PKT3_lPT1_: ; @_ZN9rocsparseL14nnz_kernel_rowILi64ELi16Eli18rocsparse_bfloat16EEv16rocsparse_order_T2_S3_PKT3_lPT1_
; %bb.0:
	s_clause 0x2
	s_load_b32 s2, s[0:1], 0x34
	s_load_b256 s[16:23], s[0:1], 0x0
	s_load_b64 s[6:7], s[0:1], 0x20
	s_mov_b32 s8, 0
	s_lshl_b32 s5, s15, 8
	s_mov_b32 s9, s8
	s_mov_b32 s10, s8
	;; [unrolled: 1-line block ×7, first 2 shown]
	v_and_b32_e32 v1, 0x3ff, v0
	v_bfe_u32 v0, v0, 10, 10
	s_mov_b32 s24, exec_lo
	s_waitcnt lgkmcnt(0)
	s_and_b32 s0, s2, 0xffff
	s_delay_alu instid0(VALU_DEP_1) | instid1(SALU_CYCLE_1)
	v_mad_u32_u24 v20, v0, s0, v1
	s_ashr_i32 s0, s18, 31
	s_delay_alu instid0(SALU_CYCLE_1) | instskip(NEXT) | instid1(SALU_CYCLE_1)
	s_lshr_b32 s0, s0, 26
	s_add_i32 s19, s18, s0
	s_delay_alu instid0(VALU_DEP_1) | instskip(SKIP_2) | instid1(VALU_DEP_2)
	v_lshrrev_b32_e32 v0, 4, v20
	v_and_b32_e32 v21, 63, v20
	s_and_not1_b32 s19, s19, 63
	v_and_b32_e32 v16, 0x7ffffc, v0
	v_dual_mov_b32 v0, s8 :: v_dual_mov_b32 v1, s9
	s_delay_alu instid0(VALU_DEP_3) | instskip(SKIP_3) | instid1(VALU_DEP_4)
	v_or_b32_e32 v18, s5, v21
	v_dual_mov_b32 v2, s10 :: v_dual_mov_b32 v3, s11
	v_dual_mov_b32 v4, s12 :: v_dual_mov_b32 v5, s13
	;; [unrolled: 1-line block ×3, first 2 shown]
	v_or_b32_e32 v24, 64, v18
	v_or_b32_e32 v23, 0x80, v18
	v_or_b32_e32 v22, 0xc0, v18
	v_cmpx_gt_i32_e64 s19, v16
	s_cbranch_execz .LBB12_28
; %bb.1:
	v_lshrrev_b32_e32 v15, 6, v20
	v_cmp_gt_i32_e64 s0, s17, v18
	v_cmp_gt_i32_e64 s1, s17, v24
	;; [unrolled: 1-line block ×4, first 2 shown]
	v_lshlrev_b32_e32 v27, 2, v15
	v_lshlrev_b32_e32 v35, 3, v15
	s_cmp_lg_u32 s16, 1
	s_delay_alu instid0(VALU_DEP_2) | instskip(SKIP_1) | instid1(VALU_DEP_2)
	v_or_b32_e32 v12, 3, v27
	v_or_b32_e32 v19, 2, v27
	v_mad_u64_u32 v[4:5], null, s22, v12, 0
	v_add_nc_u32_e32 v0, s5, v21
	s_delay_alu instid0(VALU_DEP_3) | instskip(NEXT) | instid1(VALU_DEP_2)
	v_mad_u64_u32 v[8:9], null, s22, v19, 0
	v_ashrrev_i32_e32 v1, 31, v0
	s_delay_alu instid0(VALU_DEP_1)
	v_mul_lo_u32 v17, s22, v1
	v_lshlrev_b64 v[6:7], 1, v[0:1]
	v_mov_b32_e32 v1, v5
	v_mad_u64_u32 v[2:3], null, s22, v0, 0
	v_mul_lo_u32 v13, s23, v0
	v_add_nc_u32_e32 v14, 64, v0
	s_delay_alu instid0(VALU_DEP_3) | instskip(SKIP_1) | instid1(VALU_DEP_4)
	v_mad_u64_u32 v[10:11], null, s23, v12, v[1:2]
	v_mov_b32_e32 v1, v9
	v_add3_u32 v3, v3, v17, v13
	s_delay_alu instid0(VALU_DEP_4)
	v_ashrrev_i32_e32 v25, 31, v14
	v_add_nc_u32_e32 v28, 0x80, v0
	v_mul_lo_u32 v26, s23, v14
	v_mad_u64_u32 v[11:12], null, s22, v14, 0
	v_mov_b32_e32 v5, v10
	v_lshlrev_b64 v[2:3], 1, v[2:3]
	v_mul_lo_u32 v25, s22, v25
	v_mad_u64_u32 v[13:14], null, s22, v27, s[22:23]
	s_delay_alu instid0(VALU_DEP_4)
	v_lshlrev_b64 v[4:5], 1, v[4:5]
	v_ashrrev_i32_e32 v29, 31, v28
	v_add_co_u32 v17, vcc_lo, v2, v35
	v_mad_u64_u32 v[9:10], null, s23, v19, v[1:2]
	v_add_co_ci_u32_e32 v19, vcc_lo, 0, v3, vcc_lo
	v_add3_u32 v12, v12, v25, v26
	v_add_co_u32 v25, vcc_lo, v4, v6
	v_add_co_ci_u32_e32 v26, vcc_lo, v5, v7, vcc_lo
	v_mad_u64_u32 v[4:5], null, s22, v28, 0
	v_mov_b32_e32 v3, v14
	v_lshlrev_b64 v[1:2], 1, v[11:12]
	v_mul_lo_u32 v12, s22, v29
	v_mul_lo_u32 v14, s23, v28
	s_delay_alu instid0(VALU_DEP_4) | instskip(SKIP_4) | instid1(VALU_DEP_4)
	v_mad_u64_u32 v[10:11], null, s23, v27, v[3:4]
	v_add_nc_u32_e32 v11, 0xc0, v0
	v_add_co_u32 v27, vcc_lo, v1, v35
	v_add_co_ci_u32_e32 v28, vcc_lo, 0, v2, vcc_lo
	v_lshlrev_b64 v[2:3], 1, v[8:9]
	v_ashrrev_i32_e32 v29, 31, v11
	v_add3_u32 v5, v5, v12, v14
	v_mad_u64_u32 v[0:1], null, s22, v15, 0
	v_mul_lo_u32 v31, s23, v11
	s_delay_alu instid0(VALU_DEP_4)
	v_mul_lo_u32 v12, s22, v29
	v_add_co_u32 v29, vcc_lo, v2, v6
	v_add_co_ci_u32_e32 v30, vcc_lo, v3, v7, vcc_lo
	v_lshlrev_b64 v[2:3], 1, v[4:5]
	v_mad_u64_u32 v[8:9], null, s22, v11, 0
	v_mov_b32_e32 v14, v10
	s_delay_alu instid0(VALU_DEP_3) | instskip(NEXT) | instid1(VALU_DEP_2)
	v_mad_u64_u32 v[4:5], null, s23, v15, v[1:2]
	v_lshlrev_b64 v[10:11], 1, v[13:14]
	s_delay_alu instid0(VALU_DEP_4) | instskip(SKIP_3) | instid1(VALU_DEP_4)
	v_add3_u32 v9, v9, v12, v31
	v_add_co_u32 v31, vcc_lo, v2, v35
	v_add_co_ci_u32_e32 v32, vcc_lo, 0, v3, vcc_lo
	v_mov_b32_e32 v1, v4
	v_lshlrev_b64 v[2:3], 1, v[8:9]
	v_add_co_u32 v33, vcc_lo, v10, v6
	v_add_co_ci_u32_e32 v34, vcc_lo, v11, v7, vcc_lo
	s_delay_alu instid0(VALU_DEP_4) | instskip(NEXT) | instid1(VALU_DEP_4)
	v_lshlrev_b64 v[0:1], 3, v[0:1]
	v_add_co_u32 v35, vcc_lo, v2, v35
	v_add_co_ci_u32_e32 v36, vcc_lo, 0, v3, vcc_lo
	s_delay_alu instid0(VALU_DEP_3) | instskip(NEXT) | instid1(VALU_DEP_4)
	v_add_co_u32 v37, vcc_lo, v0, v6
	v_add_co_ci_u32_e32 v38, vcc_lo, v1, v7, vcc_lo
	v_mov_b32_e32 v0, s8
	v_dual_mov_b32 v6, s14 :: v_dual_mov_b32 v1, s9
	v_dual_mov_b32 v2, s10 :: v_dual_mov_b32 v3, s11
	;; [unrolled: 1-line block ×3, first 2 shown]
	v_mov_b32_e32 v7, s15
	s_cselect_b32 s9, -1, 0
	s_lshl_b64 s[10:11], s[22:23], 7
	s_branch .LBB12_4
.LBB12_2:                               ;   in Loop: Header=BB12_4 Depth=1
	s_delay_alu instid0(VALU_DEP_1) | instskip(NEXT) | instid1(VALU_DEP_3)
	v_dual_mov_b32 v0, v8 :: v_dual_mov_b32 v1, v9
	v_dual_mov_b32 v2, v10 :: v_dual_mov_b32 v3, v11
	;; [unrolled: 1-line block ×4, first 2 shown]
.LBB12_3:                               ;   in Loop: Header=BB12_4 Depth=1
	s_or_b32 exec_lo, exec_lo, s4
	v_add_co_u32 v17, vcc_lo, 0x80, v17
	v_add_co_ci_u32_e32 v19, vcc_lo, 0, v19, vcc_lo
	v_add_co_u32 v25, vcc_lo, v25, s10
	v_add_co_ci_u32_e32 v26, vcc_lo, s11, v26, vcc_lo
	;; [unrolled: 2-line block ×5, first 2 shown]
	v_add_co_u32 v33, vcc_lo, v33, s10
	v_add_nc_u32_e32 v16, 64, v16
	v_add_co_ci_u32_e32 v34, vcc_lo, s11, v34, vcc_lo
	v_add_co_u32 v35, vcc_lo, 0x80, v35
	v_add_co_ci_u32_e32 v36, vcc_lo, 0, v36, vcc_lo
	s_delay_alu instid0(VALU_DEP_4) | instskip(SKIP_1) | instid1(VALU_DEP_1)
	v_cmp_le_i32_e32 vcc_lo, s19, v16
	v_add_co_u32 v37, s4, v37, s10
	v_add_co_ci_u32_e64 v38, s4, s11, v38, s4
	s_or_b32 s8, vcc_lo, s8
	s_delay_alu instid0(SALU_CYCLE_1)
	s_and_not1_b32 exec_lo, exec_lo, s8
	s_cbranch_execz .LBB12_27
.LBB12_4:                               ; =>This Inner Loop Header: Depth=1
	s_and_saveexec_b32 s4, s0
	s_cbranch_execnz .LBB12_8
; %bb.5:                                ;   in Loop: Header=BB12_4 Depth=1
	s_or_b32 exec_lo, exec_lo, s4
	s_and_saveexec_b32 s4, s1
	s_cbranch_execnz .LBB12_13
.LBB12_6:                               ;   in Loop: Header=BB12_4 Depth=1
	s_or_b32 exec_lo, exec_lo, s4
	s_and_saveexec_b32 s4, s2
	s_cbranch_execnz .LBB12_18
.LBB12_7:                               ;   in Loop: Header=BB12_4 Depth=1
	s_or_b32 exec_lo, exec_lo, s4
	s_and_saveexec_b32 s4, s3
	s_cbranch_execz .LBB12_3
	s_branch .LBB12_23
.LBB12_8:                               ;   in Loop: Header=BB12_4 Depth=1
	s_and_not1_b32 vcc_lo, exec_lo, s9
	s_cbranch_vccnz .LBB12_10
; %bb.9:                                ;   in Loop: Header=BB12_4 Depth=1
	v_add_co_u32 v8, vcc_lo, s20, v17
	v_add_co_ci_u32_e32 v9, vcc_lo, s21, v19, vcc_lo
	v_add_co_u32 v11, vcc_lo, v0, 1
	v_add_co_ci_u32_e32 v12, vcc_lo, 0, v1, vcc_lo
	global_load_b64 v[8:9], v[8:9], off
	s_waitcnt vmcnt(0)
	v_and_b32_e32 v10, 0x7fff, v8
	v_lshrrev_b32_e32 v8, 16, v8
	s_delay_alu instid0(VALU_DEP_2) | instskip(NEXT) | instid1(VALU_DEP_2)
	v_cmp_eq_u16_e32 vcc_lo, 0, v10
	v_and_b32_e32 v8, 0x7fff, v8
	v_dual_cndmask_b32 v10, v12, v1 :: v_dual_cndmask_b32 v11, v11, v0
	s_delay_alu instid0(VALU_DEP_1) | instskip(NEXT) | instid1(VALU_DEP_2)
	v_add_co_u32 v12, vcc_lo, v11, 1
	v_add_co_ci_u32_e32 v13, vcc_lo, 0, v10, vcc_lo
	s_delay_alu instid0(VALU_DEP_4) | instskip(NEXT) | instid1(VALU_DEP_2)
	v_cmp_eq_u16_e32 vcc_lo, 0, v8
	v_cndmask_b32_e32 v8, v13, v10, vcc_lo
	s_delay_alu instid0(VALU_DEP_4) | instskip(SKIP_1) | instid1(VALU_DEP_1)
	v_dual_cndmask_b32 v10, v12, v11 :: v_dual_and_b32 v11, 0x7fff, v9
	v_lshrrev_b32_e32 v9, 16, v9
	v_and_b32_e32 v9, 0x7fff, v9
	s_delay_alu instid0(VALU_DEP_3) | instskip(SKIP_3) | instid1(VALU_DEP_3)
	v_add_co_u32 v12, vcc_lo, v10, 1
	v_add_co_ci_u32_e32 v13, vcc_lo, 0, v8, vcc_lo
	v_cmp_eq_u16_e32 vcc_lo, 0, v11
	v_mov_b32_e32 v11, v3
	v_dual_cndmask_b32 v15, v12, v10 :: v_dual_cndmask_b32 v8, v13, v8
	v_dual_mov_b32 v10, v2 :: v_dual_mov_b32 v13, v5
	v_mov_b32_e32 v12, v4
	s_delay_alu instid0(VALU_DEP_3) | instskip(NEXT) | instid1(VALU_DEP_4)
	v_add_co_u32 v39, vcc_lo, v15, 1
	v_add_co_ci_u32_e32 v40, vcc_lo, 0, v8, vcc_lo
	v_cmp_eq_u16_e32 vcc_lo, 0, v9
	s_delay_alu instid0(VALU_DEP_2) | instskip(NEXT) | instid1(VALU_DEP_4)
	v_dual_mov_b32 v14, v6 :: v_dual_cndmask_b32 v9, v40, v8
	v_cndmask_b32_e32 v8, v39, v15, vcc_lo
	v_mov_b32_e32 v15, v7
	s_cbranch_execz .LBB12_11
	s_branch .LBB12_12
.LBB12_10:                              ;   in Loop: Header=BB12_4 Depth=1
                                        ; implicit-def: $vgpr8_vgpr9_vgpr10_vgpr11_vgpr12_vgpr13_vgpr14_vgpr15
.LBB12_11:                              ;   in Loop: Header=BB12_4 Depth=1
	v_add_co_u32 v8, vcc_lo, s20, v37
	v_add_co_ci_u32_e32 v9, vcc_lo, s21, v38, vcc_lo
	global_load_u16 v10, v[8:9], off
	v_add_co_u32 v8, vcc_lo, s20, v33
	v_add_co_ci_u32_e32 v9, vcc_lo, s21, v34, vcc_lo
	global_load_u16 v11, v[8:9], off
	;; [unrolled: 3-line block ×4, first 2 shown]
	s_waitcnt vmcnt(3)
	v_and_b32_e32 v9, 0x7fff, v10
	v_add_co_u32 v10, vcc_lo, v0, 1
	v_add_co_ci_u32_e32 v13, vcc_lo, 0, v1, vcc_lo
	s_delay_alu instid0(VALU_DEP_3) | instskip(SKIP_1) | instid1(VALU_DEP_3)
	v_cmp_eq_u16_e32 vcc_lo, 0, v9
	s_waitcnt vmcnt(2)
	v_dual_cndmask_b32 v0, v10, v0 :: v_dual_and_b32 v9, 0x7fff, v11
	s_delay_alu instid0(VALU_DEP_3) | instskip(NEXT) | instid1(VALU_DEP_2)
	v_cndmask_b32_e32 v1, v13, v1, vcc_lo
	v_add_co_u32 v10, vcc_lo, v0, 1
	s_delay_alu instid0(VALU_DEP_2) | instskip(NEXT) | instid1(VALU_DEP_4)
	v_add_co_ci_u32_e32 v11, vcc_lo, 0, v1, vcc_lo
	v_cmp_eq_u16_e32 vcc_lo, 0, v9
	s_waitcnt vmcnt(1)
	v_and_b32_e32 v9, 0x7fff, v12
	s_delay_alu instid0(VALU_DEP_3) | instskip(SKIP_2) | instid1(VALU_DEP_2)
	v_dual_cndmask_b32 v0, v10, v0 :: v_dual_cndmask_b32 v1, v11, v1
	s_waitcnt vmcnt(0)
	v_and_b32_e32 v8, 0x7fff, v8
	v_add_co_u32 v10, vcc_lo, v0, 1
	s_delay_alu instid0(VALU_DEP_3) | instskip(SKIP_1) | instid1(VALU_DEP_2)
	v_add_co_ci_u32_e32 v11, vcc_lo, 0, v1, vcc_lo
	v_cmp_eq_u16_e32 vcc_lo, 0, v9
	v_dual_cndmask_b32 v0, v10, v0 :: v_dual_cndmask_b32 v1, v11, v1
	s_delay_alu instid0(VALU_DEP_1) | instskip(NEXT) | instid1(VALU_DEP_2)
	v_add_co_u32 v9, vcc_lo, v0, 1
	v_add_co_ci_u32_e32 v10, vcc_lo, 0, v1, vcc_lo
	v_cmp_eq_u16_e32 vcc_lo, 0, v8
	s_delay_alu instid0(VALU_DEP_2) | instskip(SKIP_3) | instid1(VALU_DEP_4)
	v_dual_cndmask_b32 v0, v9, v0 :: v_dual_cndmask_b32 v1, v10, v1
	v_dual_mov_b32 v15, v7 :: v_dual_mov_b32 v12, v4
	v_dual_mov_b32 v14, v6 :: v_dual_mov_b32 v13, v5
	;; [unrolled: 1-line block ×4, first 2 shown]
.LBB12_12:                              ;   in Loop: Header=BB12_4 Depth=1
	s_delay_alu instid0(VALU_DEP_1) | instskip(NEXT) | instid1(VALU_DEP_3)
	v_dual_mov_b32 v0, v8 :: v_dual_mov_b32 v1, v9
	v_dual_mov_b32 v2, v10 :: v_dual_mov_b32 v3, v11
	;; [unrolled: 1-line block ×4, first 2 shown]
	s_or_b32 exec_lo, exec_lo, s4
	s_and_saveexec_b32 s4, s1
	s_cbranch_execz .LBB12_6
.LBB12_13:                              ;   in Loop: Header=BB12_4 Depth=1
	s_and_not1_b32 vcc_lo, exec_lo, s9
	s_cbranch_vccnz .LBB12_15
; %bb.14:                               ;   in Loop: Header=BB12_4 Depth=1
	v_add_co_u32 v8, vcc_lo, s20, v27
	v_add_co_ci_u32_e32 v9, vcc_lo, s21, v28, vcc_lo
	v_add_co_u32 v11, vcc_lo, v2, 1
	v_add_co_ci_u32_e32 v12, vcc_lo, 0, v3, vcc_lo
	global_load_b64 v[8:9], v[8:9], off
	s_waitcnt vmcnt(0)
	v_and_b32_e32 v10, 0x7fff, v8
	v_lshrrev_b32_e32 v8, 16, v8
	s_delay_alu instid0(VALU_DEP_2) | instskip(NEXT) | instid1(VALU_DEP_2)
	v_cmp_eq_u16_e32 vcc_lo, 0, v10
	v_dual_cndmask_b32 v11, v11, v2 :: v_dual_and_b32 v8, 0x7fff, v8
	v_cndmask_b32_e32 v10, v12, v3, vcc_lo
	s_delay_alu instid0(VALU_DEP_2) | instskip(NEXT) | instid1(VALU_DEP_2)
	v_add_co_u32 v12, vcc_lo, v11, 1
	v_add_co_ci_u32_e32 v13, vcc_lo, 0, v10, vcc_lo
	s_delay_alu instid0(VALU_DEP_4) | instskip(NEXT) | instid1(VALU_DEP_2)
	v_cmp_eq_u16_e32 vcc_lo, 0, v8
	v_cndmask_b32_e32 v8, v13, v10, vcc_lo
	s_delay_alu instid0(VALU_DEP_4) | instskip(NEXT) | instid1(VALU_DEP_1)
	v_dual_cndmask_b32 v10, v12, v11 :: v_dual_and_b32 v11, 0x7fff, v9
	v_add_co_u32 v12, vcc_lo, v10, 1
	s_delay_alu instid0(VALU_DEP_3) | instskip(NEXT) | instid1(VALU_DEP_3)
	v_add_co_ci_u32_e32 v13, vcc_lo, 0, v8, vcc_lo
	v_cmp_eq_u16_e32 vcc_lo, 0, v11
	v_lshrrev_b32_e32 v11, 16, v9
	v_mov_b32_e32 v9, v1
	s_delay_alu instid0(VALU_DEP_2) | instskip(SKIP_3) | instid1(VALU_DEP_3)
	v_and_b32_e32 v11, 0x7fff, v11
	v_dual_cndmask_b32 v15, v13, v8 :: v_dual_cndmask_b32 v10, v12, v10
	v_dual_mov_b32 v13, v5 :: v_dual_mov_b32 v8, v0
	v_mov_b32_e32 v12, v4
	v_add_co_u32 v39, vcc_lo, v10, 1
	s_delay_alu instid0(VALU_DEP_4) | instskip(SKIP_1) | instid1(VALU_DEP_2)
	v_add_co_ci_u32_e32 v40, vcc_lo, 0, v15, vcc_lo
	v_cmp_eq_u16_e32 vcc_lo, 0, v11
	v_dual_mov_b32 v14, v6 :: v_dual_cndmask_b32 v11, v40, v15
	s_delay_alu instid0(VALU_DEP_4)
	v_cndmask_b32_e32 v10, v39, v10, vcc_lo
	v_mov_b32_e32 v15, v7
	s_cbranch_execz .LBB12_16
	s_branch .LBB12_17
.LBB12_15:                              ;   in Loop: Header=BB12_4 Depth=1
                                        ; implicit-def: $vgpr8_vgpr9_vgpr10_vgpr11_vgpr12_vgpr13_vgpr14_vgpr15
.LBB12_16:                              ;   in Loop: Header=BB12_4 Depth=1
	v_add_co_u32 v8, vcc_lo, s20, v37
	v_add_co_ci_u32_e32 v9, vcc_lo, s21, v38, vcc_lo
	global_load_u16 v10, v[8:9], off offset:128
	v_add_co_u32 v8, vcc_lo, s20, v33
	v_add_co_ci_u32_e32 v9, vcc_lo, s21, v34, vcc_lo
	global_load_u16 v11, v[8:9], off offset:128
	;; [unrolled: 3-line block ×4, first 2 shown]
	s_waitcnt vmcnt(3)
	v_and_b32_e32 v9, 0x7fff, v10
	v_add_co_u32 v10, vcc_lo, v2, 1
	v_add_co_ci_u32_e32 v13, vcc_lo, 0, v3, vcc_lo
	s_delay_alu instid0(VALU_DEP_3) | instskip(NEXT) | instid1(VALU_DEP_2)
	v_cmp_eq_u16_e32 vcc_lo, 0, v9
	v_dual_cndmask_b32 v3, v13, v3 :: v_dual_cndmask_b32 v2, v10, v2
	s_delay_alu instid0(VALU_DEP_1) | instskip(SKIP_2) | instid1(VALU_DEP_3)
	v_add_co_u32 v10, vcc_lo, v2, 1
	s_waitcnt vmcnt(2)
	v_and_b32_e32 v9, 0x7fff, v11
	v_add_co_ci_u32_e32 v11, vcc_lo, 0, v3, vcc_lo
	s_delay_alu instid0(VALU_DEP_2)
	v_cmp_eq_u16_e32 vcc_lo, 0, v9
	s_waitcnt vmcnt(1)
	v_and_b32_e32 v9, 0x7fff, v12
	s_waitcnt vmcnt(0)
	v_and_b32_e32 v8, 0x7fff, v8
	v_dual_cndmask_b32 v2, v10, v2 :: v_dual_cndmask_b32 v3, v11, v3
	s_delay_alu instid0(VALU_DEP_1) | instskip(NEXT) | instid1(VALU_DEP_2)
	v_add_co_u32 v10, vcc_lo, v2, 1
	v_add_co_ci_u32_e32 v11, vcc_lo, 0, v3, vcc_lo
	v_cmp_eq_u16_e32 vcc_lo, 0, v9
	s_delay_alu instid0(VALU_DEP_2) | instskip(NEXT) | instid1(VALU_DEP_1)
	v_dual_cndmask_b32 v2, v10, v2 :: v_dual_cndmask_b32 v3, v11, v3
	v_add_co_u32 v9, vcc_lo, v2, 1
	s_delay_alu instid0(VALU_DEP_2) | instskip(SKIP_1) | instid1(VALU_DEP_2)
	v_add_co_ci_u32_e32 v10, vcc_lo, 0, v3, vcc_lo
	v_cmp_eq_u16_e32 vcc_lo, 0, v8
	v_dual_cndmask_b32 v3, v10, v3 :: v_dual_cndmask_b32 v2, v9, v2
	v_dual_mov_b32 v15, v7 :: v_dual_mov_b32 v14, v6
	v_dual_mov_b32 v13, v5 :: v_dual_mov_b32 v8, v0
	s_delay_alu instid0(VALU_DEP_3) | instskip(NEXT) | instid1(VALU_DEP_4)
	v_dual_mov_b32 v12, v4 :: v_dual_mov_b32 v11, v3
	v_dual_mov_b32 v10, v2 :: v_dual_mov_b32 v9, v1
.LBB12_17:                              ;   in Loop: Header=BB12_4 Depth=1
	s_delay_alu instid0(VALU_DEP_1) | instskip(NEXT) | instid1(VALU_DEP_2)
	v_dual_mov_b32 v0, v8 :: v_dual_mov_b32 v1, v9
	v_dual_mov_b32 v2, v10 :: v_dual_mov_b32 v3, v11
	s_delay_alu instid0(VALU_DEP_4)
	v_dual_mov_b32 v4, v12 :: v_dual_mov_b32 v5, v13
	v_dual_mov_b32 v6, v14 :: v_dual_mov_b32 v7, v15
	s_or_b32 exec_lo, exec_lo, s4
	s_and_saveexec_b32 s4, s2
	s_cbranch_execz .LBB12_7
.LBB12_18:                              ;   in Loop: Header=BB12_4 Depth=1
	s_and_not1_b32 vcc_lo, exec_lo, s9
	s_cbranch_vccnz .LBB12_20
; %bb.19:                               ;   in Loop: Header=BB12_4 Depth=1
	v_add_co_u32 v8, vcc_lo, s20, v31
	v_add_co_ci_u32_e32 v9, vcc_lo, s21, v32, vcc_lo
	v_add_co_u32 v11, vcc_lo, v4, 1
	v_add_co_ci_u32_e32 v12, vcc_lo, 0, v5, vcc_lo
	global_load_b64 v[8:9], v[8:9], off
	v_mov_b32_e32 v14, v6
	s_waitcnt vmcnt(0)
	v_and_b32_e32 v10, 0x7fff, v8
	v_lshrrev_b32_e32 v8, 16, v8
	s_delay_alu instid0(VALU_DEP_2) | instskip(NEXT) | instid1(VALU_DEP_2)
	v_cmp_eq_u16_e32 vcc_lo, 0, v10
	v_and_b32_e32 v8, 0x7fff, v8
	v_dual_cndmask_b32 v10, v12, v5 :: v_dual_cndmask_b32 v11, v11, v4
	s_delay_alu instid0(VALU_DEP_1) | instskip(NEXT) | instid1(VALU_DEP_2)
	v_add_co_u32 v12, vcc_lo, v11, 1
	v_add_co_ci_u32_e32 v13, vcc_lo, 0, v10, vcc_lo
	s_delay_alu instid0(VALU_DEP_4) | instskip(NEXT) | instid1(VALU_DEP_2)
	v_cmp_eq_u16_e32 vcc_lo, 0, v8
	v_cndmask_b32_e32 v8, v13, v10, vcc_lo
	s_delay_alu instid0(VALU_DEP_4) | instskip(NEXT) | instid1(VALU_DEP_1)
	v_dual_cndmask_b32 v10, v12, v11 :: v_dual_and_b32 v11, 0x7fff, v9
	v_add_co_u32 v12, vcc_lo, v10, 1
	s_delay_alu instid0(VALU_DEP_3) | instskip(NEXT) | instid1(VALU_DEP_3)
	v_add_co_ci_u32_e32 v13, vcc_lo, 0, v8, vcc_lo
	v_cmp_eq_u16_e32 vcc_lo, 0, v11
	v_lshrrev_b32_e32 v11, 16, v9
	v_mov_b32_e32 v9, v1
	s_delay_alu instid0(VALU_DEP_4) | instskip(NEXT) | instid1(VALU_DEP_3)
	v_dual_cndmask_b32 v13, v13, v8 :: v_dual_cndmask_b32 v12, v12, v10
	v_and_b32_e32 v10, 0x7fff, v11
	v_dual_mov_b32 v8, v0 :: v_dual_mov_b32 v11, v3
	s_delay_alu instid0(VALU_DEP_3) | instskip(NEXT) | instid1(VALU_DEP_4)
	v_add_co_u32 v15, vcc_lo, v12, 1
	v_add_co_ci_u32_e32 v39, vcc_lo, 0, v13, vcc_lo
	s_delay_alu instid0(VALU_DEP_4) | instskip(NEXT) | instid1(VALU_DEP_2)
	v_cmp_eq_u16_e32 vcc_lo, 0, v10
	v_dual_mov_b32 v10, v2 :: v_dual_cndmask_b32 v13, v39, v13
	s_delay_alu instid0(VALU_DEP_4)
	v_cndmask_b32_e32 v12, v15, v12, vcc_lo
	v_mov_b32_e32 v15, v7
	s_cbranch_execz .LBB12_21
	s_branch .LBB12_22
.LBB12_20:                              ;   in Loop: Header=BB12_4 Depth=1
                                        ; implicit-def: $vgpr8_vgpr9_vgpr10_vgpr11_vgpr12_vgpr13_vgpr14_vgpr15
.LBB12_21:                              ;   in Loop: Header=BB12_4 Depth=1
	v_add_co_u32 v8, vcc_lo, s20, v37
	v_add_co_ci_u32_e32 v9, vcc_lo, s21, v38, vcc_lo
	global_load_u16 v10, v[8:9], off offset:256
	v_add_co_u32 v8, vcc_lo, s20, v33
	v_add_co_ci_u32_e32 v9, vcc_lo, s21, v34, vcc_lo
	global_load_u16 v11, v[8:9], off offset:256
	;; [unrolled: 3-line block ×4, first 2 shown]
	s_waitcnt vmcnt(3)
	v_and_b32_e32 v9, 0x7fff, v10
	v_add_co_u32 v10, vcc_lo, v4, 1
	v_add_co_ci_u32_e32 v13, vcc_lo, 0, v5, vcc_lo
	s_delay_alu instid0(VALU_DEP_3) | instskip(SKIP_1) | instid1(VALU_DEP_3)
	v_cmp_eq_u16_e32 vcc_lo, 0, v9
	s_waitcnt vmcnt(2)
	v_dual_cndmask_b32 v4, v10, v4 :: v_dual_and_b32 v9, 0x7fff, v11
	s_delay_alu instid0(VALU_DEP_3) | instskip(NEXT) | instid1(VALU_DEP_2)
	v_cndmask_b32_e32 v5, v13, v5, vcc_lo
	v_add_co_u32 v10, vcc_lo, v4, 1
	s_delay_alu instid0(VALU_DEP_2) | instskip(NEXT) | instid1(VALU_DEP_4)
	v_add_co_ci_u32_e32 v11, vcc_lo, 0, v5, vcc_lo
	v_cmp_eq_u16_e32 vcc_lo, 0, v9
	s_waitcnt vmcnt(1)
	v_and_b32_e32 v9, 0x7fff, v12
	s_delay_alu instid0(VALU_DEP_3) | instskip(SKIP_2) | instid1(VALU_DEP_2)
	v_dual_cndmask_b32 v4, v10, v4 :: v_dual_cndmask_b32 v5, v11, v5
	s_waitcnt vmcnt(0)
	v_and_b32_e32 v8, 0x7fff, v8
	v_add_co_u32 v10, vcc_lo, v4, 1
	s_delay_alu instid0(VALU_DEP_3) | instskip(SKIP_1) | instid1(VALU_DEP_2)
	v_add_co_ci_u32_e32 v11, vcc_lo, 0, v5, vcc_lo
	v_cmp_eq_u16_e32 vcc_lo, 0, v9
	v_dual_cndmask_b32 v4, v10, v4 :: v_dual_cndmask_b32 v5, v11, v5
	s_delay_alu instid0(VALU_DEP_1) | instskip(NEXT) | instid1(VALU_DEP_2)
	v_add_co_u32 v9, vcc_lo, v4, 1
	v_add_co_ci_u32_e32 v10, vcc_lo, 0, v5, vcc_lo
	v_cmp_eq_u16_e32 vcc_lo, 0, v8
	s_delay_alu instid0(VALU_DEP_2) | instskip(SKIP_2) | instid1(VALU_DEP_3)
	v_dual_cndmask_b32 v4, v9, v4 :: v_dual_cndmask_b32 v5, v10, v5
	v_dual_mov_b32 v15, v7 :: v_dual_mov_b32 v14, v6
	v_dual_mov_b32 v11, v3 :: v_dual_mov_b32 v8, v0
	;; [unrolled: 1-line block ×3, first 2 shown]
	s_delay_alu instid0(VALU_DEP_4)
	v_dual_mov_b32 v12, v4 :: v_dual_mov_b32 v9, v1
.LBB12_22:                              ;   in Loop: Header=BB12_4 Depth=1
	s_delay_alu instid0(VALU_DEP_1) | instskip(NEXT) | instid1(VALU_DEP_3)
	v_dual_mov_b32 v0, v8 :: v_dual_mov_b32 v1, v9
	v_dual_mov_b32 v2, v10 :: v_dual_mov_b32 v3, v11
	s_delay_alu instid0(VALU_DEP_3)
	v_dual_mov_b32 v4, v12 :: v_dual_mov_b32 v5, v13
	v_dual_mov_b32 v6, v14 :: v_dual_mov_b32 v7, v15
	s_or_b32 exec_lo, exec_lo, s4
	s_and_saveexec_b32 s4, s3
	s_cbranch_execz .LBB12_3
.LBB12_23:                              ;   in Loop: Header=BB12_4 Depth=1
	s_and_not1_b32 vcc_lo, exec_lo, s9
	s_cbranch_vccnz .LBB12_25
; %bb.24:                               ;   in Loop: Header=BB12_4 Depth=1
	v_add_co_u32 v8, vcc_lo, s20, v35
	v_add_co_ci_u32_e32 v9, vcc_lo, s21, v36, vcc_lo
	v_add_co_u32 v11, vcc_lo, v6, 1
	v_add_co_ci_u32_e32 v12, vcc_lo, 0, v7, vcc_lo
	global_load_b64 v[8:9], v[8:9], off
	s_waitcnt vmcnt(0)
	v_and_b32_e32 v10, 0x7fff, v8
	v_lshrrev_b32_e32 v8, 16, v8
	s_delay_alu instid0(VALU_DEP_2) | instskip(NEXT) | instid1(VALU_DEP_2)
	v_cmp_eq_u16_e32 vcc_lo, 0, v10
	v_dual_cndmask_b32 v11, v11, v6 :: v_dual_and_b32 v8, 0x7fff, v8
	v_cndmask_b32_e32 v10, v12, v7, vcc_lo
	s_delay_alu instid0(VALU_DEP_2) | instskip(NEXT) | instid1(VALU_DEP_2)
	v_add_co_u32 v12, vcc_lo, v11, 1
	v_add_co_ci_u32_e32 v13, vcc_lo, 0, v10, vcc_lo
	s_delay_alu instid0(VALU_DEP_4) | instskip(NEXT) | instid1(VALU_DEP_2)
	v_cmp_eq_u16_e32 vcc_lo, 0, v8
	v_cndmask_b32_e32 v8, v13, v10, vcc_lo
	s_delay_alu instid0(VALU_DEP_4) | instskip(NEXT) | instid1(VALU_DEP_1)
	v_dual_cndmask_b32 v10, v12, v11 :: v_dual_and_b32 v11, 0x7fff, v9
	v_add_co_u32 v12, vcc_lo, v10, 1
	s_delay_alu instid0(VALU_DEP_3) | instskip(NEXT) | instid1(VALU_DEP_3)
	v_add_co_ci_u32_e32 v13, vcc_lo, 0, v8, vcc_lo
	v_cmp_eq_u16_e32 vcc_lo, 0, v11
	v_lshrrev_b32_e32 v11, 16, v9
	s_delay_alu instid0(VALU_DEP_4) | instskip(NEXT) | instid1(VALU_DEP_2)
	v_dual_mov_b32 v9, v1 :: v_dual_cndmask_b32 v14, v12, v10
	v_dual_mov_b32 v11, v3 :: v_dual_and_b32 v10, 0x7fff, v11
	v_dual_cndmask_b32 v13, v13, v8 :: v_dual_mov_b32 v8, v0
	s_delay_alu instid0(VALU_DEP_3) | instskip(SKIP_1) | instid1(VALU_DEP_3)
	v_add_co_u32 v39, vcc_lo, v14, 1
	v_mov_b32_e32 v12, v4
	v_add_co_ci_u32_e32 v15, vcc_lo, 0, v13, vcc_lo
	v_cmp_eq_u16_e32 vcc_lo, 0, v10
	s_delay_alu instid0(VALU_DEP_2)
	v_dual_mov_b32 v10, v2 :: v_dual_cndmask_b32 v15, v15, v13
	v_dual_mov_b32 v13, v5 :: v_dual_cndmask_b32 v14, v39, v14
	s_cbranch_execnz .LBB12_2
	s_branch .LBB12_26
.LBB12_25:                              ;   in Loop: Header=BB12_4 Depth=1
                                        ; implicit-def: $vgpr8_vgpr9_vgpr10_vgpr11_vgpr12_vgpr13_vgpr14_vgpr15
.LBB12_26:                              ;   in Loop: Header=BB12_4 Depth=1
	v_add_co_u32 v8, vcc_lo, s20, v37
	v_add_co_ci_u32_e32 v9, vcc_lo, s21, v38, vcc_lo
	global_load_u16 v10, v[8:9], off offset:384
	v_add_co_u32 v8, vcc_lo, s20, v33
	v_add_co_ci_u32_e32 v9, vcc_lo, s21, v34, vcc_lo
	global_load_u16 v11, v[8:9], off offset:384
	;; [unrolled: 3-line block ×4, first 2 shown]
	s_waitcnt vmcnt(3)
	v_and_b32_e32 v9, 0x7fff, v10
	v_add_co_u32 v10, vcc_lo, v6, 1
	v_add_co_ci_u32_e32 v13, vcc_lo, 0, v7, vcc_lo
	s_delay_alu instid0(VALU_DEP_3) | instskip(NEXT) | instid1(VALU_DEP_2)
	v_cmp_eq_u16_e32 vcc_lo, 0, v9
	v_dual_cndmask_b32 v7, v13, v7 :: v_dual_cndmask_b32 v6, v10, v6
	s_delay_alu instid0(VALU_DEP_1) | instskip(SKIP_2) | instid1(VALU_DEP_3)
	v_add_co_u32 v10, vcc_lo, v6, 1
	s_waitcnt vmcnt(2)
	v_and_b32_e32 v9, 0x7fff, v11
	v_add_co_ci_u32_e32 v11, vcc_lo, 0, v7, vcc_lo
	s_delay_alu instid0(VALU_DEP_2)
	v_cmp_eq_u16_e32 vcc_lo, 0, v9
	s_waitcnt vmcnt(1)
	v_and_b32_e32 v9, 0x7fff, v12
	s_waitcnt vmcnt(0)
	v_and_b32_e32 v8, 0x7fff, v8
	v_dual_cndmask_b32 v6, v10, v6 :: v_dual_cndmask_b32 v7, v11, v7
	s_delay_alu instid0(VALU_DEP_1) | instskip(NEXT) | instid1(VALU_DEP_2)
	v_add_co_u32 v10, vcc_lo, v6, 1
	v_add_co_ci_u32_e32 v11, vcc_lo, 0, v7, vcc_lo
	v_cmp_eq_u16_e32 vcc_lo, 0, v9
	s_delay_alu instid0(VALU_DEP_2) | instskip(NEXT) | instid1(VALU_DEP_1)
	v_dual_cndmask_b32 v6, v10, v6 :: v_dual_cndmask_b32 v7, v11, v7
	v_add_co_u32 v9, vcc_lo, v6, 1
	s_delay_alu instid0(VALU_DEP_2) | instskip(SKIP_1) | instid1(VALU_DEP_2)
	v_add_co_ci_u32_e32 v10, vcc_lo, 0, v7, vcc_lo
	v_cmp_eq_u16_e32 vcc_lo, 0, v8
	v_dual_cndmask_b32 v7, v10, v7 :: v_dual_cndmask_b32 v6, v9, v6
	s_delay_alu instid0(VALU_DEP_1) | instskip(NEXT) | instid1(VALU_DEP_2)
	v_dual_mov_b32 v15, v7 :: v_dual_mov_b32 v10, v2
	v_dual_mov_b32 v14, v6 :: v_dual_mov_b32 v13, v5
	v_mov_b32_e32 v8, v0
	v_dual_mov_b32 v12, v4 :: v_dual_mov_b32 v11, v3
	v_mov_b32_e32 v9, v1
	s_branch .LBB12_2
.LBB12_27:
	s_or_b32 exec_lo, exec_lo, s8
.LBB12_28:
	s_delay_alu instid0(SALU_CYCLE_1) | instskip(SKIP_1) | instid1(SALU_CYCLE_1)
	s_or_b32 exec_lo, exec_lo, s24
	s_sub_i32 s0, s18, s19
	s_cmp_lt_i32 s0, 1
	s_cbranch_scc1 .LBB12_126
; %bb.29:
	v_mov_b32_e32 v17, 0
	s_cmp_eq_u32 s16, 1
	v_ashrrev_i32_e32 v19, 31, v18
	s_cselect_b32 s1, -1, 0
	s_cmp_lg_u32 s16, 1
	v_lshlrev_b64 v[8:9], 1, v[16:17]
	s_mov_b32 s2, exec_lo
	s_delay_alu instid0(VALU_DEP_1) | instskip(NEXT) | instid1(VALU_DEP_1)
	v_add_co_u32 v12, s0, s20, v8
	v_add_co_ci_u32_e64 v13, s0, s21, v9, s0
	s_cselect_b32 s0, -1, 0
	v_cmpx_gt_i32_e64 s17, v18
	s_cbranch_execnz .LBB12_33
; %bb.30:
	s_or_b32 exec_lo, exec_lo, s2
	s_delay_alu instid0(SALU_CYCLE_1)
	s_mov_b32 s2, exec_lo
	v_cmpx_gt_i32_e64 s17, v24
	s_cbranch_execnz .LBB12_56
.LBB12_31:
	s_or_b32 exec_lo, exec_lo, s2
	s_delay_alu instid0(SALU_CYCLE_1)
	s_mov_b32 s2, exec_lo
	v_cmpx_gt_i32_e64 s17, v23
	s_cbranch_execnz .LBB12_79
.LBB12_32:
	s_or_b32 exec_lo, exec_lo, s2
	s_delay_alu instid0(SALU_CYCLE_1)
	s_mov_b32 s2, exec_lo
	v_cmpx_gt_i32_e64 s17, v22
	s_cbranch_execnz .LBB12_102
	s_branch .LBB12_125
.LBB12_33:
	v_mul_lo_u32 v10, v18, s23
	v_mul_lo_u32 v11, v19, s22
	v_mad_u64_u32 v[8:9], null, v18, s22, 0
	s_mov_b32 s3, exec_lo
	s_delay_alu instid0(VALU_DEP_1) | instskip(SKIP_1) | instid1(VALU_DEP_2)
	v_add3_u32 v9, v9, v10, v11
	v_lshlrev_b64 v[10:11], 1, v[18:19]
	v_lshlrev_b64 v[8:9], 1, v[8:9]
	s_delay_alu instid0(VALU_DEP_2) | instskip(NEXT) | instid1(VALU_DEP_3)
	v_add_co_u32 v14, vcc_lo, s20, v10
	v_add_co_ci_u32_e32 v15, vcc_lo, s21, v11, vcc_lo
	s_delay_alu instid0(VALU_DEP_3) | instskip(NEXT) | instid1(VALU_DEP_4)
	v_add_co_u32 v8, vcc_lo, v12, v8
	v_add_co_ci_u32_e32 v9, vcc_lo, v13, v9, vcc_lo
	v_cmpx_gt_i32_e64 s18, v16
	s_cbranch_execz .LBB12_37
; %bb.34:
	s_delay_alu instid0(VALU_DEP_2)
	v_dual_mov_b32 v11, v9 :: v_dual_mov_b32 v10, v8
	s_and_not1_b32 vcc_lo, exec_lo, s1
	s_cbranch_vccnz .LBB12_36
; %bb.35:
	v_mad_u64_u32 v[10:11], null, v16, s22, 0
	s_delay_alu instid0(VALU_DEP_1) | instskip(NEXT) | instid1(VALU_DEP_1)
	v_mad_u64_u32 v[25:26], null, v16, s23, v[11:12]
	v_mov_b32_e32 v11, v25
	s_delay_alu instid0(VALU_DEP_1) | instskip(NEXT) | instid1(VALU_DEP_1)
	v_lshlrev_b64 v[10:11], 1, v[10:11]
	v_add_co_u32 v10, vcc_lo, v14, v10
	s_delay_alu instid0(VALU_DEP_2)
	v_add_co_ci_u32_e32 v11, vcc_lo, v15, v11, vcc_lo
.LBB12_36:
	global_load_u16 v10, v[10:11], off
	s_waitcnt vmcnt(0)
	v_and_b32_e32 v10, 0x7fff, v10
	s_delay_alu instid0(VALU_DEP_1) | instskip(SKIP_1) | instid1(VALU_DEP_1)
	v_cmp_ne_u16_e32 vcc_lo, 0, v10
	v_cndmask_b32_e64 v10, 0, 1, vcc_lo
	v_add_co_u32 v0, vcc_lo, v0, v10
	v_add_co_ci_u32_e32 v1, vcc_lo, 0, v1, vcc_lo
.LBB12_37:
	s_or_b32 exec_lo, exec_lo, s3
	v_or_b32_e32 v17, 1, v16
	s_mov_b32 s3, exec_lo
	s_delay_alu instid0(VALU_DEP_1)
	v_cmpx_gt_i32_e64 s18, v17
	s_cbranch_execz .LBB12_43
; %bb.38:
	s_and_not1_b32 vcc_lo, exec_lo, s0
	s_cbranch_vccnz .LBB12_40
; %bb.39:
	v_add_co_u32 v10, vcc_lo, v8, 2
	v_add_co_ci_u32_e32 v11, vcc_lo, 0, v9, vcc_lo
	s_cbranch_execz .LBB12_41
	s_branch .LBB12_42
.LBB12_40:
                                        ; implicit-def: $vgpr10_vgpr11
.LBB12_41:
	v_mad_u64_u32 v[10:11], null, v17, s22, 0
	s_delay_alu instid0(VALU_DEP_1) | instskip(NEXT) | instid1(VALU_DEP_1)
	v_mad_u64_u32 v[25:26], null, v17, s23, v[11:12]
	v_mov_b32_e32 v11, v25
	s_delay_alu instid0(VALU_DEP_1) | instskip(NEXT) | instid1(VALU_DEP_1)
	v_lshlrev_b64 v[10:11], 1, v[10:11]
	v_add_co_u32 v10, vcc_lo, v14, v10
	s_delay_alu instid0(VALU_DEP_2)
	v_add_co_ci_u32_e32 v11, vcc_lo, v15, v11, vcc_lo
.LBB12_42:
	global_load_u16 v10, v[10:11], off
	s_waitcnt vmcnt(0)
	v_and_b32_e32 v10, 0x7fff, v10
	s_delay_alu instid0(VALU_DEP_1) | instskip(SKIP_1) | instid1(VALU_DEP_1)
	v_cmp_ne_u16_e32 vcc_lo, 0, v10
	v_cndmask_b32_e64 v10, 0, 1, vcc_lo
	v_add_co_u32 v0, vcc_lo, v0, v10
	v_add_co_ci_u32_e32 v1, vcc_lo, 0, v1, vcc_lo
.LBB12_43:
	s_or_b32 exec_lo, exec_lo, s3
	v_or_b32_e32 v17, 2, v16
	s_mov_b32 s3, exec_lo
	s_delay_alu instid0(VALU_DEP_1)
	v_cmpx_gt_i32_e64 s18, v17
	s_cbranch_execz .LBB12_49
; %bb.44:
	s_and_not1_b32 vcc_lo, exec_lo, s0
	s_cbranch_vccnz .LBB12_46
; %bb.45:
	v_add_co_u32 v10, vcc_lo, v8, 4
	v_add_co_ci_u32_e32 v11, vcc_lo, 0, v9, vcc_lo
	s_cbranch_execz .LBB12_47
	s_branch .LBB12_48
.LBB12_46:
                                        ; implicit-def: $vgpr10_vgpr11
.LBB12_47:
	v_mad_u64_u32 v[10:11], null, v17, s22, 0
	s_delay_alu instid0(VALU_DEP_1) | instskip(NEXT) | instid1(VALU_DEP_1)
	v_mad_u64_u32 v[25:26], null, v17, s23, v[11:12]
	v_mov_b32_e32 v11, v25
	s_delay_alu instid0(VALU_DEP_1) | instskip(NEXT) | instid1(VALU_DEP_1)
	v_lshlrev_b64 v[10:11], 1, v[10:11]
	v_add_co_u32 v10, vcc_lo, v14, v10
	s_delay_alu instid0(VALU_DEP_2)
	v_add_co_ci_u32_e32 v11, vcc_lo, v15, v11, vcc_lo
.LBB12_48:
	global_load_u16 v10, v[10:11], off
	s_waitcnt vmcnt(0)
	v_and_b32_e32 v10, 0x7fff, v10
	s_delay_alu instid0(VALU_DEP_1) | instskip(SKIP_1) | instid1(VALU_DEP_1)
	v_cmp_ne_u16_e32 vcc_lo, 0, v10
	v_cndmask_b32_e64 v10, 0, 1, vcc_lo
	v_add_co_u32 v0, vcc_lo, v0, v10
	v_add_co_ci_u32_e32 v1, vcc_lo, 0, v1, vcc_lo
.LBB12_49:
	s_or_b32 exec_lo, exec_lo, s3
	v_or_b32_e32 v10, 3, v16
	s_mov_b32 s3, exec_lo
	s_delay_alu instid0(VALU_DEP_1)
	v_cmpx_gt_i32_e64 s18, v10
	s_cbranch_execz .LBB12_55
; %bb.50:
	s_and_not1_b32 vcc_lo, exec_lo, s0
	s_cbranch_vccnz .LBB12_52
; %bb.51:
	v_add_co_u32 v8, vcc_lo, v8, 6
	v_add_co_ci_u32_e32 v9, vcc_lo, 0, v9, vcc_lo
	s_cbranch_execz .LBB12_53
	s_branch .LBB12_54
.LBB12_52:
                                        ; implicit-def: $vgpr8_vgpr9
.LBB12_53:
	v_mad_u64_u32 v[8:9], null, v10, s22, 0
	s_delay_alu instid0(VALU_DEP_1) | instskip(NEXT) | instid1(VALU_DEP_1)
	v_mad_u64_u32 v[25:26], null, v10, s23, v[9:10]
	v_mov_b32_e32 v9, v25
	s_delay_alu instid0(VALU_DEP_1) | instskip(NEXT) | instid1(VALU_DEP_1)
	v_lshlrev_b64 v[8:9], 1, v[8:9]
	v_add_co_u32 v8, vcc_lo, v14, v8
	s_delay_alu instid0(VALU_DEP_2)
	v_add_co_ci_u32_e32 v9, vcc_lo, v15, v9, vcc_lo
.LBB12_54:
	global_load_u16 v8, v[8:9], off
	s_waitcnt vmcnt(0)
	v_and_b32_e32 v8, 0x7fff, v8
	s_delay_alu instid0(VALU_DEP_1) | instskip(SKIP_1) | instid1(VALU_DEP_1)
	v_cmp_ne_u16_e32 vcc_lo, 0, v8
	v_cndmask_b32_e64 v8, 0, 1, vcc_lo
	v_add_co_u32 v0, vcc_lo, v0, v8
	v_add_co_ci_u32_e32 v1, vcc_lo, 0, v1, vcc_lo
.LBB12_55:
	s_or_b32 exec_lo, exec_lo, s3
	s_delay_alu instid0(SALU_CYCLE_1) | instskip(NEXT) | instid1(SALU_CYCLE_1)
	s_or_b32 exec_lo, exec_lo, s2
	s_mov_b32 s2, exec_lo
	v_cmpx_gt_i32_e64 s17, v24
	s_cbranch_execz .LBB12_31
.LBB12_56:
	v_ashrrev_i32_e32 v10, 31, v24
	v_mul_lo_u32 v11, v24, s23
	v_mad_u64_u32 v[8:9], null, v24, s22, 0
	s_mov_b32 s3, exec_lo
	s_delay_alu instid0(VALU_DEP_3) | instskip(NEXT) | instid1(VALU_DEP_1)
	v_mul_lo_u32 v10, v10, s22
	v_add3_u32 v9, v9, v11, v10
	v_lshlrev_b64 v[10:11], 1, v[18:19]
	s_delay_alu instid0(VALU_DEP_2) | instskip(NEXT) | instid1(VALU_DEP_2)
	v_lshlrev_b64 v[8:9], 1, v[8:9]
	v_add_co_u32 v14, vcc_lo, s20, v10
	s_delay_alu instid0(VALU_DEP_3) | instskip(NEXT) | instid1(VALU_DEP_3)
	v_add_co_ci_u32_e32 v15, vcc_lo, s21, v11, vcc_lo
	v_add_co_u32 v8, vcc_lo, v12, v8
	s_delay_alu instid0(VALU_DEP_4)
	v_add_co_ci_u32_e32 v9, vcc_lo, v13, v9, vcc_lo
	v_cmpx_gt_i32_e64 s18, v16
	s_cbranch_execz .LBB12_60
; %bb.57:
	s_delay_alu instid0(VALU_DEP_2)
	v_dual_mov_b32 v11, v9 :: v_dual_mov_b32 v10, v8
	s_and_not1_b32 vcc_lo, exec_lo, s1
	s_cbranch_vccnz .LBB12_59
; %bb.58:
	v_mad_u64_u32 v[10:11], null, v16, s22, 0
	s_delay_alu instid0(VALU_DEP_1) | instskip(NEXT) | instid1(VALU_DEP_1)
	v_mad_u64_u32 v[24:25], null, v16, s23, v[11:12]
	v_mov_b32_e32 v11, v24
	s_delay_alu instid0(VALU_DEP_1) | instskip(NEXT) | instid1(VALU_DEP_1)
	v_lshlrev_b64 v[10:11], 1, v[10:11]
	v_add_co_u32 v10, vcc_lo, v14, v10
	s_delay_alu instid0(VALU_DEP_2) | instskip(NEXT) | instid1(VALU_DEP_2)
	v_add_co_ci_u32_e32 v11, vcc_lo, v15, v11, vcc_lo
	v_add_co_u32 v10, vcc_lo, 0x80, v10
	s_delay_alu instid0(VALU_DEP_2)
	v_add_co_ci_u32_e32 v11, vcc_lo, 0, v11, vcc_lo
.LBB12_59:
	global_load_u16 v10, v[10:11], off
	s_waitcnt vmcnt(0)
	v_and_b32_e32 v10, 0x7fff, v10
	s_delay_alu instid0(VALU_DEP_1) | instskip(SKIP_1) | instid1(VALU_DEP_1)
	v_cmp_ne_u16_e32 vcc_lo, 0, v10
	v_cndmask_b32_e64 v10, 0, 1, vcc_lo
	v_add_co_u32 v2, vcc_lo, v2, v10
	v_add_co_ci_u32_e32 v3, vcc_lo, 0, v3, vcc_lo
.LBB12_60:
	s_or_b32 exec_lo, exec_lo, s3
	v_or_b32_e32 v17, 1, v16
	s_mov_b32 s3, exec_lo
	s_delay_alu instid0(VALU_DEP_1)
	v_cmpx_gt_i32_e64 s18, v17
	s_cbranch_execz .LBB12_66
; %bb.61:
	s_and_not1_b32 vcc_lo, exec_lo, s0
	s_cbranch_vccnz .LBB12_63
; %bb.62:
	v_add_co_u32 v10, vcc_lo, v8, 2
	v_add_co_ci_u32_e32 v11, vcc_lo, 0, v9, vcc_lo
	s_cbranch_execz .LBB12_64
	s_branch .LBB12_65
.LBB12_63:
                                        ; implicit-def: $vgpr10_vgpr11
.LBB12_64:
	v_mad_u64_u32 v[10:11], null, v17, s22, 0
	s_delay_alu instid0(VALU_DEP_1) | instskip(NEXT) | instid1(VALU_DEP_1)
	v_mad_u64_u32 v[24:25], null, v17, s23, v[11:12]
	v_mov_b32_e32 v11, v24
	s_delay_alu instid0(VALU_DEP_1) | instskip(NEXT) | instid1(VALU_DEP_1)
	v_lshlrev_b64 v[10:11], 1, v[10:11]
	v_add_co_u32 v10, vcc_lo, v14, v10
	s_delay_alu instid0(VALU_DEP_2) | instskip(NEXT) | instid1(VALU_DEP_2)
	v_add_co_ci_u32_e32 v11, vcc_lo, v15, v11, vcc_lo
	v_add_co_u32 v10, vcc_lo, 0x80, v10
	s_delay_alu instid0(VALU_DEP_2)
	v_add_co_ci_u32_e32 v11, vcc_lo, 0, v11, vcc_lo
.LBB12_65:
	global_load_u16 v10, v[10:11], off
	s_waitcnt vmcnt(0)
	v_and_b32_e32 v10, 0x7fff, v10
	s_delay_alu instid0(VALU_DEP_1) | instskip(SKIP_1) | instid1(VALU_DEP_1)
	v_cmp_ne_u16_e32 vcc_lo, 0, v10
	v_cndmask_b32_e64 v10, 0, 1, vcc_lo
	v_add_co_u32 v2, vcc_lo, v2, v10
	v_add_co_ci_u32_e32 v3, vcc_lo, 0, v3, vcc_lo
.LBB12_66:
	s_or_b32 exec_lo, exec_lo, s3
	v_or_b32_e32 v17, 2, v16
	s_mov_b32 s3, exec_lo
	s_delay_alu instid0(VALU_DEP_1)
	v_cmpx_gt_i32_e64 s18, v17
	s_cbranch_execz .LBB12_72
; %bb.67:
	s_and_not1_b32 vcc_lo, exec_lo, s0
	s_cbranch_vccnz .LBB12_69
; %bb.68:
	v_add_co_u32 v10, vcc_lo, v8, 4
	v_add_co_ci_u32_e32 v11, vcc_lo, 0, v9, vcc_lo
	s_cbranch_execz .LBB12_70
	s_branch .LBB12_71
.LBB12_69:
                                        ; implicit-def: $vgpr10_vgpr11
.LBB12_70:
	v_mad_u64_u32 v[10:11], null, v17, s22, 0
	s_delay_alu instid0(VALU_DEP_1) | instskip(NEXT) | instid1(VALU_DEP_1)
	v_mad_u64_u32 v[24:25], null, v17, s23, v[11:12]
	v_mov_b32_e32 v11, v24
	s_delay_alu instid0(VALU_DEP_1) | instskip(NEXT) | instid1(VALU_DEP_1)
	v_lshlrev_b64 v[10:11], 1, v[10:11]
	v_add_co_u32 v10, vcc_lo, v14, v10
	s_delay_alu instid0(VALU_DEP_2) | instskip(NEXT) | instid1(VALU_DEP_2)
	v_add_co_ci_u32_e32 v11, vcc_lo, v15, v11, vcc_lo
	v_add_co_u32 v10, vcc_lo, 0x80, v10
	s_delay_alu instid0(VALU_DEP_2)
	v_add_co_ci_u32_e32 v11, vcc_lo, 0, v11, vcc_lo
.LBB12_71:
	global_load_u16 v10, v[10:11], off
	s_waitcnt vmcnt(0)
	v_and_b32_e32 v10, 0x7fff, v10
	s_delay_alu instid0(VALU_DEP_1) | instskip(SKIP_1) | instid1(VALU_DEP_1)
	v_cmp_ne_u16_e32 vcc_lo, 0, v10
	v_cndmask_b32_e64 v10, 0, 1, vcc_lo
	v_add_co_u32 v2, vcc_lo, v2, v10
	v_add_co_ci_u32_e32 v3, vcc_lo, 0, v3, vcc_lo
.LBB12_72:
	s_or_b32 exec_lo, exec_lo, s3
	v_or_b32_e32 v10, 3, v16
	s_mov_b32 s3, exec_lo
	s_delay_alu instid0(VALU_DEP_1)
	v_cmpx_gt_i32_e64 s18, v10
	s_cbranch_execz .LBB12_78
; %bb.73:
	s_and_not1_b32 vcc_lo, exec_lo, s0
	s_cbranch_vccnz .LBB12_75
; %bb.74:
	v_add_co_u32 v8, vcc_lo, v8, 6
	v_add_co_ci_u32_e32 v9, vcc_lo, 0, v9, vcc_lo
	s_cbranch_execz .LBB12_76
	s_branch .LBB12_77
.LBB12_75:
                                        ; implicit-def: $vgpr8_vgpr9
.LBB12_76:
	v_mad_u64_u32 v[8:9], null, v10, s22, 0
	s_delay_alu instid0(VALU_DEP_1) | instskip(NEXT) | instid1(VALU_DEP_1)
	v_mad_u64_u32 v[24:25], null, v10, s23, v[9:10]
	v_mov_b32_e32 v9, v24
	s_delay_alu instid0(VALU_DEP_1) | instskip(NEXT) | instid1(VALU_DEP_1)
	v_lshlrev_b64 v[8:9], 1, v[8:9]
	v_add_co_u32 v8, vcc_lo, v14, v8
	s_delay_alu instid0(VALU_DEP_2) | instskip(NEXT) | instid1(VALU_DEP_2)
	v_add_co_ci_u32_e32 v9, vcc_lo, v15, v9, vcc_lo
	v_add_co_u32 v8, vcc_lo, 0x80, v8
	s_delay_alu instid0(VALU_DEP_2)
	v_add_co_ci_u32_e32 v9, vcc_lo, 0, v9, vcc_lo
.LBB12_77:
	global_load_u16 v8, v[8:9], off
	s_waitcnt vmcnt(0)
	v_and_b32_e32 v8, 0x7fff, v8
	s_delay_alu instid0(VALU_DEP_1) | instskip(SKIP_1) | instid1(VALU_DEP_1)
	v_cmp_ne_u16_e32 vcc_lo, 0, v8
	v_cndmask_b32_e64 v8, 0, 1, vcc_lo
	v_add_co_u32 v2, vcc_lo, v2, v8
	v_add_co_ci_u32_e32 v3, vcc_lo, 0, v3, vcc_lo
.LBB12_78:
	s_or_b32 exec_lo, exec_lo, s3
	s_delay_alu instid0(SALU_CYCLE_1) | instskip(NEXT) | instid1(SALU_CYCLE_1)
	s_or_b32 exec_lo, exec_lo, s2
	s_mov_b32 s2, exec_lo
	v_cmpx_gt_i32_e64 s17, v23
	s_cbranch_execz .LBB12_32
.LBB12_79:
	v_ashrrev_i32_e32 v10, 31, v23
	v_mul_lo_u32 v11, v23, s23
	v_mad_u64_u32 v[8:9], null, v23, s22, 0
	s_mov_b32 s3, exec_lo
	s_delay_alu instid0(VALU_DEP_3) | instskip(NEXT) | instid1(VALU_DEP_1)
	v_mul_lo_u32 v10, v10, s22
	v_add3_u32 v9, v9, v11, v10
	v_lshlrev_b64 v[10:11], 1, v[18:19]
	s_delay_alu instid0(VALU_DEP_2) | instskip(NEXT) | instid1(VALU_DEP_2)
	v_lshlrev_b64 v[8:9], 1, v[8:9]
	v_add_co_u32 v14, vcc_lo, s20, v10
	s_delay_alu instid0(VALU_DEP_3) | instskip(NEXT) | instid1(VALU_DEP_3)
	v_add_co_ci_u32_e32 v15, vcc_lo, s21, v11, vcc_lo
	v_add_co_u32 v8, vcc_lo, v12, v8
	s_delay_alu instid0(VALU_DEP_4)
	v_add_co_ci_u32_e32 v9, vcc_lo, v13, v9, vcc_lo
	v_cmpx_gt_i32_e64 s18, v16
	s_cbranch_execz .LBB12_83
; %bb.80:
	s_delay_alu instid0(VALU_DEP_2)
	v_dual_mov_b32 v11, v9 :: v_dual_mov_b32 v10, v8
	s_and_not1_b32 vcc_lo, exec_lo, s1
	s_cbranch_vccnz .LBB12_82
; %bb.81:
	v_mad_u64_u32 v[10:11], null, v16, s22, 0
	s_delay_alu instid0(VALU_DEP_1) | instskip(NEXT) | instid1(VALU_DEP_1)
	v_mad_u64_u32 v[23:24], null, v16, s23, v[11:12]
	v_mov_b32_e32 v11, v23
	s_delay_alu instid0(VALU_DEP_1) | instskip(NEXT) | instid1(VALU_DEP_1)
	v_lshlrev_b64 v[10:11], 1, v[10:11]
	v_add_co_u32 v10, vcc_lo, v14, v10
	s_delay_alu instid0(VALU_DEP_2) | instskip(NEXT) | instid1(VALU_DEP_2)
	v_add_co_ci_u32_e32 v11, vcc_lo, v15, v11, vcc_lo
	v_add_co_u32 v10, vcc_lo, 0x100, v10
	s_delay_alu instid0(VALU_DEP_2)
	v_add_co_ci_u32_e32 v11, vcc_lo, 0, v11, vcc_lo
.LBB12_82:
	global_load_u16 v10, v[10:11], off
	s_waitcnt vmcnt(0)
	v_and_b32_e32 v10, 0x7fff, v10
	s_delay_alu instid0(VALU_DEP_1) | instskip(SKIP_1) | instid1(VALU_DEP_1)
	v_cmp_ne_u16_e32 vcc_lo, 0, v10
	v_cndmask_b32_e64 v10, 0, 1, vcc_lo
	v_add_co_u32 v4, vcc_lo, v4, v10
	v_add_co_ci_u32_e32 v5, vcc_lo, 0, v5, vcc_lo
.LBB12_83:
	s_or_b32 exec_lo, exec_lo, s3
	v_or_b32_e32 v17, 1, v16
	s_mov_b32 s3, exec_lo
	s_delay_alu instid0(VALU_DEP_1)
	v_cmpx_gt_i32_e64 s18, v17
	s_cbranch_execz .LBB12_89
; %bb.84:
	s_and_not1_b32 vcc_lo, exec_lo, s0
	s_cbranch_vccnz .LBB12_86
; %bb.85:
	v_add_co_u32 v10, vcc_lo, v8, 2
	v_add_co_ci_u32_e32 v11, vcc_lo, 0, v9, vcc_lo
	s_cbranch_execz .LBB12_87
	s_branch .LBB12_88
.LBB12_86:
                                        ; implicit-def: $vgpr10_vgpr11
.LBB12_87:
	v_mad_u64_u32 v[10:11], null, v17, s22, 0
	s_delay_alu instid0(VALU_DEP_1) | instskip(NEXT) | instid1(VALU_DEP_1)
	v_mad_u64_u32 v[23:24], null, v17, s23, v[11:12]
	v_mov_b32_e32 v11, v23
	s_delay_alu instid0(VALU_DEP_1) | instskip(NEXT) | instid1(VALU_DEP_1)
	v_lshlrev_b64 v[10:11], 1, v[10:11]
	v_add_co_u32 v10, vcc_lo, v14, v10
	s_delay_alu instid0(VALU_DEP_2) | instskip(NEXT) | instid1(VALU_DEP_2)
	v_add_co_ci_u32_e32 v11, vcc_lo, v15, v11, vcc_lo
	v_add_co_u32 v10, vcc_lo, 0x100, v10
	s_delay_alu instid0(VALU_DEP_2)
	v_add_co_ci_u32_e32 v11, vcc_lo, 0, v11, vcc_lo
.LBB12_88:
	global_load_u16 v10, v[10:11], off
	s_waitcnt vmcnt(0)
	v_and_b32_e32 v10, 0x7fff, v10
	s_delay_alu instid0(VALU_DEP_1) | instskip(SKIP_1) | instid1(VALU_DEP_1)
	v_cmp_ne_u16_e32 vcc_lo, 0, v10
	v_cndmask_b32_e64 v10, 0, 1, vcc_lo
	v_add_co_u32 v4, vcc_lo, v4, v10
	v_add_co_ci_u32_e32 v5, vcc_lo, 0, v5, vcc_lo
.LBB12_89:
	s_or_b32 exec_lo, exec_lo, s3
	v_or_b32_e32 v17, 2, v16
	s_mov_b32 s3, exec_lo
	s_delay_alu instid0(VALU_DEP_1)
	v_cmpx_gt_i32_e64 s18, v17
	s_cbranch_execz .LBB12_95
; %bb.90:
	s_and_not1_b32 vcc_lo, exec_lo, s0
	s_cbranch_vccnz .LBB12_92
; %bb.91:
	v_add_co_u32 v10, vcc_lo, v8, 4
	v_add_co_ci_u32_e32 v11, vcc_lo, 0, v9, vcc_lo
	s_cbranch_execz .LBB12_93
	s_branch .LBB12_94
.LBB12_92:
                                        ; implicit-def: $vgpr10_vgpr11
.LBB12_93:
	v_mad_u64_u32 v[10:11], null, v17, s22, 0
	s_delay_alu instid0(VALU_DEP_1) | instskip(NEXT) | instid1(VALU_DEP_1)
	v_mad_u64_u32 v[23:24], null, v17, s23, v[11:12]
	v_mov_b32_e32 v11, v23
	s_delay_alu instid0(VALU_DEP_1) | instskip(NEXT) | instid1(VALU_DEP_1)
	v_lshlrev_b64 v[10:11], 1, v[10:11]
	v_add_co_u32 v10, vcc_lo, v14, v10
	s_delay_alu instid0(VALU_DEP_2) | instskip(NEXT) | instid1(VALU_DEP_2)
	v_add_co_ci_u32_e32 v11, vcc_lo, v15, v11, vcc_lo
	v_add_co_u32 v10, vcc_lo, 0x100, v10
	s_delay_alu instid0(VALU_DEP_2)
	v_add_co_ci_u32_e32 v11, vcc_lo, 0, v11, vcc_lo
.LBB12_94:
	global_load_u16 v10, v[10:11], off
	s_waitcnt vmcnt(0)
	v_and_b32_e32 v10, 0x7fff, v10
	s_delay_alu instid0(VALU_DEP_1) | instskip(SKIP_1) | instid1(VALU_DEP_1)
	v_cmp_ne_u16_e32 vcc_lo, 0, v10
	v_cndmask_b32_e64 v10, 0, 1, vcc_lo
	v_add_co_u32 v4, vcc_lo, v4, v10
	v_add_co_ci_u32_e32 v5, vcc_lo, 0, v5, vcc_lo
.LBB12_95:
	s_or_b32 exec_lo, exec_lo, s3
	v_or_b32_e32 v10, 3, v16
	s_mov_b32 s3, exec_lo
	s_delay_alu instid0(VALU_DEP_1)
	v_cmpx_gt_i32_e64 s18, v10
	s_cbranch_execz .LBB12_101
; %bb.96:
	s_and_not1_b32 vcc_lo, exec_lo, s0
	s_cbranch_vccnz .LBB12_98
; %bb.97:
	v_add_co_u32 v8, vcc_lo, v8, 6
	v_add_co_ci_u32_e32 v9, vcc_lo, 0, v9, vcc_lo
	s_cbranch_execz .LBB12_99
	s_branch .LBB12_100
.LBB12_98:
                                        ; implicit-def: $vgpr8_vgpr9
.LBB12_99:
	v_mad_u64_u32 v[8:9], null, v10, s22, 0
	s_delay_alu instid0(VALU_DEP_1) | instskip(NEXT) | instid1(VALU_DEP_1)
	v_mad_u64_u32 v[23:24], null, v10, s23, v[9:10]
	v_mov_b32_e32 v9, v23
	s_delay_alu instid0(VALU_DEP_1) | instskip(NEXT) | instid1(VALU_DEP_1)
	v_lshlrev_b64 v[8:9], 1, v[8:9]
	v_add_co_u32 v8, vcc_lo, v14, v8
	s_delay_alu instid0(VALU_DEP_2) | instskip(NEXT) | instid1(VALU_DEP_2)
	v_add_co_ci_u32_e32 v9, vcc_lo, v15, v9, vcc_lo
	v_add_co_u32 v8, vcc_lo, 0x100, v8
	s_delay_alu instid0(VALU_DEP_2)
	v_add_co_ci_u32_e32 v9, vcc_lo, 0, v9, vcc_lo
.LBB12_100:
	global_load_u16 v8, v[8:9], off
	s_waitcnt vmcnt(0)
	v_and_b32_e32 v8, 0x7fff, v8
	s_delay_alu instid0(VALU_DEP_1) | instskip(SKIP_1) | instid1(VALU_DEP_1)
	v_cmp_ne_u16_e32 vcc_lo, 0, v8
	v_cndmask_b32_e64 v8, 0, 1, vcc_lo
	v_add_co_u32 v4, vcc_lo, v4, v8
	v_add_co_ci_u32_e32 v5, vcc_lo, 0, v5, vcc_lo
.LBB12_101:
	s_or_b32 exec_lo, exec_lo, s3
	s_delay_alu instid0(SALU_CYCLE_1) | instskip(NEXT) | instid1(SALU_CYCLE_1)
	s_or_b32 exec_lo, exec_lo, s2
	s_mov_b32 s2, exec_lo
	v_cmpx_gt_i32_e64 s17, v22
	s_cbranch_execz .LBB12_125
.LBB12_102:
	v_ashrrev_i32_e32 v10, 31, v22
	v_mul_lo_u32 v11, v22, s23
	v_mad_u64_u32 v[8:9], null, v22, s22, 0
	s_mov_b32 s3, exec_lo
	s_delay_alu instid0(VALU_DEP_3) | instskip(NEXT) | instid1(VALU_DEP_1)
	v_mul_lo_u32 v10, v10, s22
	v_add3_u32 v9, v9, v11, v10
	v_lshlrev_b64 v[10:11], 1, v[18:19]
	s_delay_alu instid0(VALU_DEP_2) | instskip(NEXT) | instid1(VALU_DEP_2)
	v_lshlrev_b64 v[8:9], 1, v[8:9]
	v_add_co_u32 v14, vcc_lo, s20, v10
	s_delay_alu instid0(VALU_DEP_3) | instskip(NEXT) | instid1(VALU_DEP_3)
	v_add_co_ci_u32_e32 v15, vcc_lo, s21, v11, vcc_lo
	v_add_co_u32 v8, vcc_lo, v12, v8
	s_delay_alu instid0(VALU_DEP_4)
	v_add_co_ci_u32_e32 v9, vcc_lo, v13, v9, vcc_lo
	v_cmpx_gt_i32_e64 s18, v16
	s_cbranch_execz .LBB12_106
; %bb.103:
	s_delay_alu instid0(VALU_DEP_2)
	v_dual_mov_b32 v11, v9 :: v_dual_mov_b32 v10, v8
	s_and_not1_b32 vcc_lo, exec_lo, s1
	s_cbranch_vccnz .LBB12_105
; %bb.104:
	v_mad_u64_u32 v[10:11], null, v16, s22, 0
	s_delay_alu instid0(VALU_DEP_1) | instskip(NEXT) | instid1(VALU_DEP_1)
	v_mad_u64_u32 v[12:13], null, v16, s23, v[11:12]
	v_mov_b32_e32 v11, v12
	s_delay_alu instid0(VALU_DEP_1) | instskip(NEXT) | instid1(VALU_DEP_1)
	v_lshlrev_b64 v[10:11], 1, v[10:11]
	v_add_co_u32 v10, vcc_lo, v14, v10
	s_delay_alu instid0(VALU_DEP_2) | instskip(NEXT) | instid1(VALU_DEP_2)
	v_add_co_ci_u32_e32 v11, vcc_lo, v15, v11, vcc_lo
	v_add_co_u32 v10, vcc_lo, 0x180, v10
	s_delay_alu instid0(VALU_DEP_2)
	v_add_co_ci_u32_e32 v11, vcc_lo, 0, v11, vcc_lo
.LBB12_105:
	global_load_u16 v10, v[10:11], off
	s_waitcnt vmcnt(0)
	v_and_b32_e32 v10, 0x7fff, v10
	s_delay_alu instid0(VALU_DEP_1) | instskip(SKIP_1) | instid1(VALU_DEP_1)
	v_cmp_ne_u16_e32 vcc_lo, 0, v10
	v_cndmask_b32_e64 v10, 0, 1, vcc_lo
	v_add_co_u32 v6, vcc_lo, v6, v10
	v_add_co_ci_u32_e32 v7, vcc_lo, 0, v7, vcc_lo
.LBB12_106:
	s_or_b32 exec_lo, exec_lo, s3
	v_or_b32_e32 v13, 1, v16
	v_cndmask_b32_e64 v12, 0, 1, s0
	s_mov_b32 s1, exec_lo
	s_delay_alu instid0(VALU_DEP_2)
	v_cmpx_gt_i32_e64 s18, v13
	s_cbranch_execz .LBB12_112
; %bb.107:
	s_and_not1_b32 vcc_lo, exec_lo, s0
	s_cbranch_vccnz .LBB12_109
; %bb.108:
	v_add_co_u32 v10, vcc_lo, v8, 2
	v_add_co_ci_u32_e32 v11, vcc_lo, 0, v9, vcc_lo
	s_cbranch_execz .LBB12_110
	s_branch .LBB12_111
.LBB12_109:
                                        ; implicit-def: $vgpr10_vgpr11
.LBB12_110:
	v_mad_u64_u32 v[10:11], null, v13, s22, 0
	s_delay_alu instid0(VALU_DEP_1) | instskip(NEXT) | instid1(VALU_DEP_1)
	v_mad_u64_u32 v[17:18], null, v13, s23, v[11:12]
	v_mov_b32_e32 v11, v17
	s_delay_alu instid0(VALU_DEP_1) | instskip(NEXT) | instid1(VALU_DEP_1)
	v_lshlrev_b64 v[10:11], 1, v[10:11]
	v_add_co_u32 v10, vcc_lo, v14, v10
	s_delay_alu instid0(VALU_DEP_2) | instskip(NEXT) | instid1(VALU_DEP_2)
	v_add_co_ci_u32_e32 v11, vcc_lo, v15, v11, vcc_lo
	v_add_co_u32 v10, vcc_lo, 0x180, v10
	s_delay_alu instid0(VALU_DEP_2)
	v_add_co_ci_u32_e32 v11, vcc_lo, 0, v11, vcc_lo
.LBB12_111:
	global_load_u16 v10, v[10:11], off
	s_waitcnt vmcnt(0)
	v_and_b32_e32 v10, 0x7fff, v10
	s_delay_alu instid0(VALU_DEP_1) | instskip(SKIP_1) | instid1(VALU_DEP_1)
	v_cmp_ne_u16_e32 vcc_lo, 0, v10
	v_cndmask_b32_e64 v10, 0, 1, vcc_lo
	v_add_co_u32 v6, vcc_lo, v6, v10
	v_add_co_ci_u32_e32 v7, vcc_lo, 0, v7, vcc_lo
.LBB12_112:
	s_or_b32 exec_lo, exec_lo, s1
	v_or_b32_e32 v13, 2, v16
	s_mov_b32 s0, exec_lo
	s_delay_alu instid0(VALU_DEP_1)
	v_cmpx_gt_i32_e64 s18, v13
	s_cbranch_execz .LBB12_118
; %bb.113:
	v_cmp_ne_u32_e32 vcc_lo, 1, v12
	s_cbranch_vccnz .LBB12_115
; %bb.114:
	v_add_co_u32 v10, vcc_lo, v8, 4
	v_add_co_ci_u32_e32 v11, vcc_lo, 0, v9, vcc_lo
	s_cbranch_execz .LBB12_116
	s_branch .LBB12_117
.LBB12_115:
                                        ; implicit-def: $vgpr10_vgpr11
.LBB12_116:
	v_mad_u64_u32 v[10:11], null, v13, s22, 0
	s_delay_alu instid0(VALU_DEP_1) | instskip(NEXT) | instid1(VALU_DEP_1)
	v_mad_u64_u32 v[17:18], null, v13, s23, v[11:12]
	v_mov_b32_e32 v11, v17
	s_delay_alu instid0(VALU_DEP_1) | instskip(NEXT) | instid1(VALU_DEP_1)
	v_lshlrev_b64 v[10:11], 1, v[10:11]
	v_add_co_u32 v10, vcc_lo, v14, v10
	s_delay_alu instid0(VALU_DEP_2) | instskip(NEXT) | instid1(VALU_DEP_2)
	v_add_co_ci_u32_e32 v11, vcc_lo, v15, v11, vcc_lo
	v_add_co_u32 v10, vcc_lo, 0x180, v10
	s_delay_alu instid0(VALU_DEP_2)
	v_add_co_ci_u32_e32 v11, vcc_lo, 0, v11, vcc_lo
.LBB12_117:
	global_load_u16 v10, v[10:11], off
	s_waitcnt vmcnt(0)
	v_and_b32_e32 v10, 0x7fff, v10
	s_delay_alu instid0(VALU_DEP_1) | instskip(SKIP_1) | instid1(VALU_DEP_1)
	v_cmp_ne_u16_e32 vcc_lo, 0, v10
	v_cndmask_b32_e64 v10, 0, 1, vcc_lo
	v_add_co_u32 v6, vcc_lo, v6, v10
	v_add_co_ci_u32_e32 v7, vcc_lo, 0, v7, vcc_lo
.LBB12_118:
	s_or_b32 exec_lo, exec_lo, s0
	v_or_b32_e32 v10, 3, v16
	s_mov_b32 s0, exec_lo
	s_delay_alu instid0(VALU_DEP_1)
	v_cmpx_gt_i32_e64 s18, v10
	s_cbranch_execz .LBB12_124
; %bb.119:
	v_cmp_ne_u32_e32 vcc_lo, 1, v12
	s_cbranch_vccnz .LBB12_121
; %bb.120:
	v_add_co_u32 v8, vcc_lo, v8, 6
	v_add_co_ci_u32_e32 v9, vcc_lo, 0, v9, vcc_lo
	s_cbranch_execz .LBB12_122
	s_branch .LBB12_123
.LBB12_121:
                                        ; implicit-def: $vgpr8_vgpr9
.LBB12_122:
	v_mad_u64_u32 v[8:9], null, v10, s22, 0
	s_delay_alu instid0(VALU_DEP_1) | instskip(NEXT) | instid1(VALU_DEP_1)
	v_mad_u64_u32 v[11:12], null, v10, s23, v[9:10]
	v_mov_b32_e32 v9, v11
	s_delay_alu instid0(VALU_DEP_1) | instskip(NEXT) | instid1(VALU_DEP_1)
	v_lshlrev_b64 v[8:9], 1, v[8:9]
	v_add_co_u32 v8, vcc_lo, v14, v8
	s_delay_alu instid0(VALU_DEP_2) | instskip(NEXT) | instid1(VALU_DEP_2)
	v_add_co_ci_u32_e32 v9, vcc_lo, v15, v9, vcc_lo
	v_add_co_u32 v8, vcc_lo, 0x180, v8
	s_delay_alu instid0(VALU_DEP_2)
	v_add_co_ci_u32_e32 v9, vcc_lo, 0, v9, vcc_lo
.LBB12_123:
	global_load_u16 v8, v[8:9], off
	s_waitcnt vmcnt(0)
	v_and_b32_e32 v8, 0x7fff, v8
	s_delay_alu instid0(VALU_DEP_1) | instskip(SKIP_1) | instid1(VALU_DEP_1)
	v_cmp_ne_u16_e32 vcc_lo, 0, v8
	v_cndmask_b32_e64 v8, 0, 1, vcc_lo
	v_add_co_u32 v6, vcc_lo, v6, v8
	v_add_co_ci_u32_e32 v7, vcc_lo, 0, v7, vcc_lo
.LBB12_124:
	s_or_b32 exec_lo, exec_lo, s0
.LBB12_125:
	s_delay_alu instid0(SALU_CYCLE_1)
	s_or_b32 exec_lo, exec_lo, s2
.LBB12_126:
	v_lshlrev_b32_e32 v8, 2, v20
	s_mov_b32 s0, exec_lo
	s_delay_alu instid0(VALU_DEP_1) | instskip(NEXT) | instid1(VALU_DEP_1)
	v_and_or_b32 v8, 0x1fffff00, v8, v21
	v_lshlrev_b32_e32 v8, 3, v8
	ds_store_2addr_stride64_b64 v8, v[0:1], v[2:3] offset1:1
	ds_store_2addr_stride64_b64 v8, v[4:5], v[6:7] offset0:2 offset1:3
	s_waitcnt lgkmcnt(0)
	s_barrier
	buffer_gl0_inv
	v_cmpx_gt_u32_e32 0x100, v20
	s_cbranch_execz .LBB12_129
; %bb.127:
	v_lshlrev_b32_e32 v12, 3, v20
	ds_load_2addr_stride64_b64 v[0:3], v12 offset1:4
	ds_load_2addr_stride64_b64 v[4:7], v12 offset0:8 offset1:12
	ds_load_2addr_stride64_b64 v[8:11], v12 offset0:16 offset1:20
	s_waitcnt lgkmcnt(2)
	v_add_co_u32 v13, vcc_lo, v0, v2
	v_add_co_ci_u32_e32 v14, vcc_lo, v1, v3, vcc_lo
	ds_load_2addr_stride64_b64 v[0:3], v12 offset0:24 offset1:28
	s_waitcnt lgkmcnt(2)
	v_add_co_u32 v4, vcc_lo, v13, v4
	v_add_co_ci_u32_e32 v5, vcc_lo, v14, v5, vcc_lo
	s_delay_alu instid0(VALU_DEP_2) | instskip(NEXT) | instid1(VALU_DEP_2)
	v_add_co_u32 v13, vcc_lo, v4, v6
	v_add_co_ci_u32_e32 v14, vcc_lo, v5, v7, vcc_lo
	ds_load_2addr_stride64_b64 v[4:7], v12 offset0:32 offset1:36
	s_waitcnt lgkmcnt(2)
	v_add_co_u32 v8, vcc_lo, v13, v8
	v_add_co_ci_u32_e32 v9, vcc_lo, v14, v9, vcc_lo
	s_delay_alu instid0(VALU_DEP_2) | instskip(NEXT) | instid1(VALU_DEP_2)
	;; [unrolled: 7-line block ×5, first 2 shown]
	v_add_co_u32 v8, vcc_lo, v8, v10
	v_add_co_ci_u32_e32 v9, vcc_lo, v9, v11, vcc_lo
	s_waitcnt lgkmcnt(1)
	s_delay_alu instid0(VALU_DEP_2) | instskip(NEXT) | instid1(VALU_DEP_2)
	v_add_co_u32 v0, vcc_lo, v8, v0
	v_add_co_ci_u32_e32 v1, vcc_lo, v9, v1, vcc_lo
	s_delay_alu instid0(VALU_DEP_2) | instskip(NEXT) | instid1(VALU_DEP_2)
	v_add_co_u32 v0, vcc_lo, v0, v2
	v_add_co_ci_u32_e32 v1, vcc_lo, v1, v3, vcc_lo
	v_add_nc_u32_e32 v2, s5, v20
	s_waitcnt lgkmcnt(0)
	s_delay_alu instid0(VALU_DEP_3) | instskip(NEXT) | instid1(VALU_DEP_3)
	v_add_co_u32 v0, vcc_lo, v0, v4
	v_add_co_ci_u32_e32 v1, vcc_lo, v1, v5, vcc_lo
	s_delay_alu instid0(VALU_DEP_2) | instskip(NEXT) | instid1(VALU_DEP_2)
	v_add_co_u32 v0, vcc_lo, v0, v6
	v_add_co_ci_u32_e32 v1, vcc_lo, v1, v7, vcc_lo
	v_cmp_gt_i32_e32 vcc_lo, s17, v2
	ds_store_b64 v12, v[0:1]
	s_and_b32 exec_lo, exec_lo, vcc_lo
	s_cbranch_execz .LBB12_129
; %bb.128:
	v_ashrrev_i32_e32 v3, 31, v2
	s_delay_alu instid0(VALU_DEP_1) | instskip(NEXT) | instid1(VALU_DEP_1)
	v_lshlrev_b64 v[2:3], 3, v[2:3]
	v_add_co_u32 v2, vcc_lo, s6, v2
	s_delay_alu instid0(VALU_DEP_2)
	v_add_co_ci_u32_e32 v3, vcc_lo, s7, v3, vcc_lo
	global_store_b64 v[2:3], v[0:1], off
.LBB12_129:
	s_nop 0
	s_sendmsg sendmsg(MSG_DEALLOC_VGPRS)
	s_endpgm
	.section	.rodata,"a",@progbits
	.p2align	6, 0x0
	.amdhsa_kernel _ZN9rocsparseL14nnz_kernel_rowILi64ELi16Eli18rocsparse_bfloat16EEv16rocsparse_order_T2_S3_PKT3_lPT1_
		.amdhsa_group_segment_fixed_size 32768
		.amdhsa_private_segment_fixed_size 0
		.amdhsa_kernarg_size 296
		.amdhsa_user_sgpr_count 15
		.amdhsa_user_sgpr_dispatch_ptr 0
		.amdhsa_user_sgpr_queue_ptr 0
		.amdhsa_user_sgpr_kernarg_segment_ptr 1
		.amdhsa_user_sgpr_dispatch_id 0
		.amdhsa_user_sgpr_private_segment_size 0
		.amdhsa_wavefront_size32 1
		.amdhsa_uses_dynamic_stack 0
		.amdhsa_enable_private_segment 0
		.amdhsa_system_sgpr_workgroup_id_x 1
		.amdhsa_system_sgpr_workgroup_id_y 0
		.amdhsa_system_sgpr_workgroup_id_z 0
		.amdhsa_system_sgpr_workgroup_info 0
		.amdhsa_system_vgpr_workitem_id 1
		.amdhsa_next_free_vgpr 41
		.amdhsa_next_free_sgpr 25
		.amdhsa_reserve_vcc 1
		.amdhsa_float_round_mode_32 0
		.amdhsa_float_round_mode_16_64 0
		.amdhsa_float_denorm_mode_32 3
		.amdhsa_float_denorm_mode_16_64 3
		.amdhsa_dx10_clamp 1
		.amdhsa_ieee_mode 1
		.amdhsa_fp16_overflow 0
		.amdhsa_workgroup_processor_mode 1
		.amdhsa_memory_ordered 1
		.amdhsa_forward_progress 0
		.amdhsa_shared_vgpr_count 0
		.amdhsa_exception_fp_ieee_invalid_op 0
		.amdhsa_exception_fp_denorm_src 0
		.amdhsa_exception_fp_ieee_div_zero 0
		.amdhsa_exception_fp_ieee_overflow 0
		.amdhsa_exception_fp_ieee_underflow 0
		.amdhsa_exception_fp_ieee_inexact 0
		.amdhsa_exception_int_div_zero 0
	.end_amdhsa_kernel
	.section	.text._ZN9rocsparseL14nnz_kernel_rowILi64ELi16Eli18rocsparse_bfloat16EEv16rocsparse_order_T2_S3_PKT3_lPT1_,"axG",@progbits,_ZN9rocsparseL14nnz_kernel_rowILi64ELi16Eli18rocsparse_bfloat16EEv16rocsparse_order_T2_S3_PKT3_lPT1_,comdat
.Lfunc_end12:
	.size	_ZN9rocsparseL14nnz_kernel_rowILi64ELi16Eli18rocsparse_bfloat16EEv16rocsparse_order_T2_S3_PKT3_lPT1_, .Lfunc_end12-_ZN9rocsparseL14nnz_kernel_rowILi64ELi16Eli18rocsparse_bfloat16EEv16rocsparse_order_T2_S3_PKT3_lPT1_
                                        ; -- End function
	.section	.AMDGPU.csdata,"",@progbits
; Kernel info:
; codeLenInByte = 7000
; NumSgprs: 27
; NumVgprs: 41
; ScratchSize: 0
; MemoryBound: 0
; FloatMode: 240
; IeeeMode: 1
; LDSByteSize: 32768 bytes/workgroup (compile time only)
; SGPRBlocks: 3
; VGPRBlocks: 5
; NumSGPRsForWavesPerEU: 27
; NumVGPRsForWavesPerEU: 41
; Occupancy: 16
; WaveLimiterHint : 0
; COMPUTE_PGM_RSRC2:SCRATCH_EN: 0
; COMPUTE_PGM_RSRC2:USER_SGPR: 15
; COMPUTE_PGM_RSRC2:TRAP_HANDLER: 0
; COMPUTE_PGM_RSRC2:TGID_X_EN: 1
; COMPUTE_PGM_RSRC2:TGID_Y_EN: 0
; COMPUTE_PGM_RSRC2:TGID_Z_EN: 0
; COMPUTE_PGM_RSRC2:TIDIG_COMP_CNT: 1
	.section	.text._ZN9rocsparseL14nnz_kernel_colILi256Eli18rocsparse_bfloat16EEv16rocsparse_order_T1_S3_PKT2_lPT0_,"axG",@progbits,_ZN9rocsparseL14nnz_kernel_colILi256Eli18rocsparse_bfloat16EEv16rocsparse_order_T1_S3_PKT2_lPT0_,comdat
	.globl	_ZN9rocsparseL14nnz_kernel_colILi256Eli18rocsparse_bfloat16EEv16rocsparse_order_T1_S3_PKT2_lPT0_ ; -- Begin function _ZN9rocsparseL14nnz_kernel_colILi256Eli18rocsparse_bfloat16EEv16rocsparse_order_T1_S3_PKT2_lPT0_
	.p2align	8
	.type	_ZN9rocsparseL14nnz_kernel_colILi256Eli18rocsparse_bfloat16EEv16rocsparse_order_T1_S3_PKT2_lPT0_,@function
_ZN9rocsparseL14nnz_kernel_colILi256Eli18rocsparse_bfloat16EEv16rocsparse_order_T1_S3_PKT2_lPT0_: ; @_ZN9rocsparseL14nnz_kernel_colILi256Eli18rocsparse_bfloat16EEv16rocsparse_order_T1_S3_PKT2_lPT0_
; %bb.0:
	s_clause 0x1
	s_load_b64 s[2:3], s[0:1], 0x0
	s_load_b128 s[4:7], s[0:1], 0x10
	s_mov_b32 s8, s15
	s_waitcnt lgkmcnt(0)
	s_ashr_i32 s9, s3, 31
	s_delay_alu instid0(SALU_CYCLE_1) | instskip(NEXT) | instid1(SALU_CYCLE_1)
	s_lshr_b32 s9, s9, 24
	s_add_i32 s9, s3, s9
	s_delay_alu instid0(SALU_CYCLE_1)
	s_and_b32 s10, s9, 0xffffff00
	s_cmp_eq_u32 s2, 1
	s_cbranch_scc1 .LBB13_6
; %bb.1:
	v_mov_b32_e32 v1, 0
	v_mov_b32_e32 v2, 0
	s_cmpk_lt_i32 s3, 0x100
	s_cbranch_scc1 .LBB13_7
; %bb.2:
	v_mad_u64_u32 v[1:2], null, s6, v0, 0
	s_ashr_i32 s9, s8, 31
	s_delay_alu instid0(SALU_CYCLE_1) | instskip(NEXT) | instid1(SALU_CYCLE_1)
	s_lshl_b64 s[12:13], s[8:9], 1
	s_add_u32 s2, s4, s12
	s_addc_u32 s9, s5, s13
	s_delay_alu instid0(VALU_DEP_1) | instskip(SKIP_1) | instid1(VALU_DEP_1)
	v_mad_u64_u32 v[3:4], null, s7, v0, v[2:3]
	s_lshl_b64 s[12:13], s[6:7], 9
	v_mov_b32_e32 v2, v3
	s_delay_alu instid0(VALU_DEP_1) | instskip(SKIP_2) | instid1(VALU_DEP_3)
	v_lshlrev_b64 v[3:4], 1, v[1:2]
	v_mov_b32_e32 v1, 0
	v_mov_b32_e32 v2, 0
	v_add_co_u32 v3, vcc_lo, s2, v3
	s_delay_alu instid0(VALU_DEP_4)
	v_add_co_ci_u32_e32 v4, vcc_lo, s9, v4, vcc_lo
	s_mov_b32 s2, 0
	s_branch .LBB13_4
	.p2align	6
.LBB13_3:                               ;   in Loop: Header=BB13_4 Depth=1
	s_or_b32 exec_lo, exec_lo, s9
	v_add_co_u32 v3, vcc_lo, v3, s12
	v_add_co_ci_u32_e32 v4, vcc_lo, s13, v4, vcc_lo
	s_addk_i32 s2, 0x100
	s_delay_alu instid0(SALU_CYCLE_1)
	s_cmp_ge_i32 s2, s10
	s_cbranch_scc1 .LBB13_7
.LBB13_4:                               ; =>This Inner Loop Header: Depth=1
	v_add_nc_u32_e32 v5, s2, v0
	s_mov_b32 s9, exec_lo
	s_delay_alu instid0(VALU_DEP_1)
	v_cmpx_gt_i32_e64 s3, v5
	s_cbranch_execz .LBB13_3
; %bb.5:                                ;   in Loop: Header=BB13_4 Depth=1
	global_load_u16 v5, v[3:4], off
	s_waitcnt vmcnt(0)
	v_and_b32_e32 v5, 0x7fff, v5
	s_delay_alu instid0(VALU_DEP_1) | instskip(SKIP_1) | instid1(VALU_DEP_1)
	v_cmp_ne_u16_e32 vcc_lo, 0, v5
	v_cndmask_b32_e64 v5, 0, 1, vcc_lo
	v_add_co_u32 v1, vcc_lo, v1, v5
	v_add_co_ci_u32_e32 v2, vcc_lo, 0, v2, vcc_lo
	s_branch .LBB13_3
.LBB13_6:
	s_mov_b32 s12, 0
                                        ; implicit-def: $vgpr1_vgpr2
                                        ; implicit-def: $vgpr3_vgpr4
	s_cbranch_execnz .LBB13_10
	s_branch .LBB13_16
.LBB13_7:
	v_add_nc_u32_e32 v5, s10, v0
	s_mov_b32 s2, 0
	s_mov_b32 s12, 0
                                        ; implicit-def: $vgpr3_vgpr4
	s_mov_b32 s9, exec_lo
	s_delay_alu instid0(VALU_DEP_1)
	v_cmpx_gt_i32_e64 s3, v5
	s_xor_b32 s11, exec_lo, s9
	s_cbranch_execz .LBB13_9
; %bb.8:
	v_ashrrev_i32_e32 v6, 31, v5
	v_mul_lo_u32 v7, v5, s7
	v_mad_u64_u32 v[3:4], null, v5, s6, 0
	s_ashr_i32 s9, s8, 31
	s_delay_alu instid0(VALU_DEP_3) | instskip(SKIP_4) | instid1(VALU_DEP_1)
	v_mul_lo_u32 v5, v6, s6
	s_lshl_b64 s[14:15], s[8:9], 1
	s_mov_b32 s12, exec_lo
	s_add_u32 s9, s14, s4
	s_addc_u32 s13, s15, s5
	v_add3_u32 v4, v4, v7, v5
	s_delay_alu instid0(VALU_DEP_1) | instskip(NEXT) | instid1(VALU_DEP_1)
	v_lshlrev_b64 v[3:4], 1, v[3:4]
	v_add_co_u32 v3, vcc_lo, s9, v3
	s_delay_alu instid0(VALU_DEP_2)
	v_add_co_ci_u32_e32 v4, vcc_lo, s13, v4, vcc_lo
.LBB13_9:
	s_or_b32 exec_lo, exec_lo, s11
	s_delay_alu instid0(SALU_CYCLE_1)
	s_and_b32 vcc_lo, exec_lo, s2
	s_cbranch_vccz .LBB13_16
.LBB13_10:
	v_cmp_gt_i32_e32 vcc_lo, s3, v0
	s_mul_i32 s2, s8, s7
	s_mul_hi_u32 s7, s8, s6
	s_ashr_i32 s9, s8, 31
	s_add_i32 s2, s7, s2
	v_cndmask_b32_e32 v1, 0, v0, vcc_lo
	s_mul_i32 s9, s9, s6
	s_mul_i32 s6, s8, s6
	s_add_i32 s7, s2, s9
	s_delay_alu instid0(SALU_CYCLE_1)
	s_lshl_b64 s[6:7], s[6:7], 1
	v_lshlrev_b32_e32 v3, 1, v1
	s_add_u32 s2, s4, s6
	v_mov_b32_e32 v1, 0
	v_mov_b32_e32 v2, 0
	s_addc_u32 s4, s5, s7
	v_add_co_u32 v5, s2, s2, v3
	s_delay_alu instid0(VALU_DEP_1)
	v_add_co_ci_u32_e64 v6, null, s4, 0, s2
	s_cmpk_lt_i32 s3, 0x100
	s_mov_b32 s4, 0
	s_cbranch_scc1 .LBB13_13
; %bb.11:
	v_mov_b32_e32 v1, 0
	v_dual_mov_b32 v2, 0 :: v_dual_mov_b32 v3, v5
	v_mov_b32_e32 v4, v6
	.p2align	6
.LBB13_12:                              ; =>This Inner Loop Header: Depth=1
	global_load_u16 v7, v[3:4], off
	v_add_co_u32 v3, vcc_lo, 0x200, v3
	v_add_co_ci_u32_e32 v4, vcc_lo, 0, v4, vcc_lo
	s_addk_i32 s4, 0x100
	s_delay_alu instid0(SALU_CYCLE_1) | instskip(SKIP_2) | instid1(VALU_DEP_1)
	s_cmp_ge_i32 s4, s10
	s_waitcnt vmcnt(0)
	v_and_b32_e32 v7, 0x7fff, v7
	v_cmp_ne_u16_e64 s2, 0, v7
	s_delay_alu instid0(VALU_DEP_1) | instskip(NEXT) | instid1(VALU_DEP_1)
	v_cndmask_b32_e64 v7, 0, 1, s2
	v_add_co_u32 v1, vcc_lo, v1, v7
	v_add_co_ci_u32_e32 v2, vcc_lo, 0, v2, vcc_lo
	s_cbranch_scc0 .LBB13_12
.LBB13_13:
	v_add_nc_u32_e32 v3, s10, v0
	s_delay_alu instid0(VALU_DEP_1)
	v_cmp_gt_i32_e32 vcc_lo, s3, v3
                                        ; implicit-def: $vgpr3_vgpr4
	s_and_saveexec_b32 s2, vcc_lo
; %bb.14:
	s_ashr_i32 s11, s10, 31
	s_or_b32 s12, s12, exec_lo
	s_lshl_b64 s[4:5], s[10:11], 1
	s_delay_alu instid0(SALU_CYCLE_1)
	v_add_co_u32 v3, vcc_lo, v5, s4
	v_add_co_ci_u32_e32 v4, vcc_lo, s5, v6, vcc_lo
; %bb.15:
	s_or_b32 exec_lo, exec_lo, s2
.LBB13_16:
	s_and_saveexec_b32 s2, s12
	s_cbranch_execz .LBB13_18
; %bb.17:
	global_load_u16 v3, v[3:4], off
	s_waitcnt vmcnt(0)
	v_and_b32_e32 v3, 0x7fff, v3
	s_delay_alu instid0(VALU_DEP_1) | instskip(SKIP_1) | instid1(VALU_DEP_1)
	v_cmp_ne_u16_e32 vcc_lo, 0, v3
	v_cndmask_b32_e64 v3, 0, 1, vcc_lo
	v_add_co_u32 v1, vcc_lo, v1, v3
	v_add_co_ci_u32_e32 v2, vcc_lo, 0, v2, vcc_lo
.LBB13_18:
	s_or_b32 exec_lo, exec_lo, s2
	v_lshlrev_b32_e32 v3, 3, v0
	v_cmp_eq_u32_e32 vcc_lo, 0, v0
	s_cmpk_lt_i32 s3, 0x100
	s_mov_b32 s2, -1
	ds_store_b64 v3, v[1:2]
	s_waitcnt lgkmcnt(0)
	s_cbranch_scc0 .LBB13_29
; %bb.19:
	s_cmp_gt_i32 s3, 1
	s_mov_b32 s4, 1
	s_cselect_b32 s2, -1, 0
	s_barrier
	s_and_b32 s5, vcc_lo, s2
	buffer_gl0_inv
	s_and_saveexec_b32 s2, s5
	s_cbranch_execz .LBB13_28
; %bb.20:
	v_mov_b32_e32 v1, 0
	s_add_i32 s5, s3, -2
	s_add_i32 s3, s3, -1
	s_cmp_lt_u32 s5, 7
	ds_load_b64 v[1:2], v1
	s_cbranch_scc1 .LBB13_24
; %bb.21:
	s_and_b32 s4, s3, -8
	s_mov_b32 s6, 0
	s_mov_b32 s5, 8
	s_set_inst_prefetch_distance 0x1
	.p2align	6
.LBB13_22:                              ; =>This Inner Loop Header: Depth=1
	v_mov_b32_e32 v16, s5
	s_mov_b32 s7, s6
	s_add_i32 s6, s6, 8
	s_add_i32 s5, s5, 64
	s_cmp_lg_u32 s4, s6
	ds_load_2addr_b64 v[4:7], v16 offset1:1
	ds_load_2addr_b64 v[8:11], v16 offset0:2 offset1:3
	ds_load_2addr_b64 v[12:15], v16 offset0:4 offset1:5
	s_waitcnt lgkmcnt(2)
	v_add_co_u32 v1, vcc_lo, v1, v4
	v_add_co_ci_u32_e32 v2, vcc_lo, v2, v5, vcc_lo
	s_delay_alu instid0(VALU_DEP_2) | instskip(NEXT) | instid1(VALU_DEP_2)
	v_add_co_u32 v1, vcc_lo, v1, v6
	v_add_co_ci_u32_e32 v2, vcc_lo, v2, v7, vcc_lo
	ds_load_2addr_b64 v[4:7], v16 offset0:6 offset1:7
	s_waitcnt lgkmcnt(2)
	v_add_co_u32 v1, vcc_lo, v1, v8
	v_add_co_ci_u32_e32 v2, vcc_lo, v2, v9, vcc_lo
	s_delay_alu instid0(VALU_DEP_2) | instskip(NEXT) | instid1(VALU_DEP_2)
	v_add_co_u32 v1, vcc_lo, v1, v10
	v_add_co_ci_u32_e32 v2, vcc_lo, v2, v11, vcc_lo
	s_waitcnt lgkmcnt(1)
	s_delay_alu instid0(VALU_DEP_2) | instskip(NEXT) | instid1(VALU_DEP_2)
	v_add_co_u32 v1, vcc_lo, v1, v12
	v_add_co_ci_u32_e32 v2, vcc_lo, v2, v13, vcc_lo
	s_delay_alu instid0(VALU_DEP_2) | instskip(NEXT) | instid1(VALU_DEP_2)
	v_add_co_u32 v1, vcc_lo, v1, v14
	v_add_co_ci_u32_e32 v2, vcc_lo, v2, v15, vcc_lo
	s_waitcnt lgkmcnt(0)
	s_delay_alu instid0(VALU_DEP_2) | instskip(NEXT) | instid1(VALU_DEP_2)
	v_add_co_u32 v1, vcc_lo, v1, v4
	v_add_co_ci_u32_e32 v2, vcc_lo, v2, v5, vcc_lo
	s_delay_alu instid0(VALU_DEP_2) | instskip(NEXT) | instid1(VALU_DEP_2)
	v_add_co_u32 v1, vcc_lo, v1, v6
	v_add_co_ci_u32_e32 v2, vcc_lo, v2, v7, vcc_lo
	s_cbranch_scc1 .LBB13_22
; %bb.23:
	s_set_inst_prefetch_distance 0x2
	s_add_i32 s4, s7, 9
.LBB13_24:
	s_and_b32 s3, s3, 7
	s_delay_alu instid0(SALU_CYCLE_1)
	s_cmp_eq_u32 s3, 0
	s_cbranch_scc1 .LBB13_27
; %bb.25:
	s_lshl_b32 s4, s4, 3
.LBB13_26:                              ; =>This Inner Loop Header: Depth=1
	s_delay_alu instid0(SALU_CYCLE_1)
	v_mov_b32_e32 v4, s4
	s_add_i32 s3, s3, -1
	s_add_i32 s4, s4, 8
	s_cmp_lg_u32 s3, 0
	ds_load_b64 v[4:5], v4
	s_waitcnt lgkmcnt(0)
	v_add_co_u32 v1, vcc_lo, v1, v4
	v_add_co_ci_u32_e32 v2, vcc_lo, v2, v5, vcc_lo
	s_cbranch_scc1 .LBB13_26
.LBB13_27:
	v_mov_b32_e32 v4, 0
	s_waitcnt lgkmcnt(0)
	ds_store_b64 v4, v[1:2]
.LBB13_28:
	s_or_b32 exec_lo, exec_lo, s2
	s_mov_b32 s2, 0
	s_waitcnt lgkmcnt(0)
	s_barrier
.LBB13_29:
	s_and_b32 vcc_lo, exec_lo, s2
	s_cbranch_vccz .LBB13_47
; %bb.30:
	s_mov_b32 s2, exec_lo
	s_barrier
	buffer_gl0_inv
	v_cmpx_gt_u32_e32 0x80, v0
	s_cbranch_execz .LBB13_32
; %bb.31:
	ds_load_2addr_stride64_b64 v[4:7], v3 offset1:2
	s_waitcnt lgkmcnt(0)
	v_add_co_u32 v1, vcc_lo, v4, v6
	v_add_co_ci_u32_e32 v2, vcc_lo, v5, v7, vcc_lo
	ds_store_b64 v3, v[1:2]
.LBB13_32:
	s_or_b32 exec_lo, exec_lo, s2
	s_delay_alu instid0(SALU_CYCLE_1)
	s_mov_b32 s2, exec_lo
	s_waitcnt lgkmcnt(0)
	s_barrier
	buffer_gl0_inv
	v_cmpx_gt_u32_e32 64, v0
	s_cbranch_execz .LBB13_34
; %bb.33:
	ds_load_2addr_stride64_b64 v[4:7], v3 offset1:1
	s_waitcnt lgkmcnt(0)
	v_add_co_u32 v1, vcc_lo, v4, v6
	v_add_co_ci_u32_e32 v2, vcc_lo, v5, v7, vcc_lo
	ds_store_b64 v3, v[1:2]
.LBB13_34:
	s_or_b32 exec_lo, exec_lo, s2
	s_delay_alu instid0(SALU_CYCLE_1)
	s_mov_b32 s2, exec_lo
	s_waitcnt lgkmcnt(0)
	s_barrier
	buffer_gl0_inv
	v_cmpx_gt_u32_e32 32, v0
	s_cbranch_execz .LBB13_36
; %bb.35:
	ds_load_2addr_b64 v[4:7], v3 offset1:32
	s_waitcnt lgkmcnt(0)
	v_add_co_u32 v1, vcc_lo, v4, v6
	v_add_co_ci_u32_e32 v2, vcc_lo, v5, v7, vcc_lo
	ds_store_b64 v3, v[1:2]
.LBB13_36:
	s_or_b32 exec_lo, exec_lo, s2
	s_delay_alu instid0(SALU_CYCLE_1)
	s_mov_b32 s2, exec_lo
	s_waitcnt lgkmcnt(0)
	s_barrier
	buffer_gl0_inv
	v_cmpx_gt_u32_e32 16, v0
	s_cbranch_execz .LBB13_38
; %bb.37:
	ds_load_2addr_b64 v[4:7], v3 offset1:16
	s_waitcnt lgkmcnt(0)
	v_add_co_u32 v1, vcc_lo, v4, v6
	v_add_co_ci_u32_e32 v2, vcc_lo, v5, v7, vcc_lo
	ds_store_b64 v3, v[1:2]
.LBB13_38:
	;; [unrolled: 15-line block ×5, first 2 shown]
	s_or_b32 exec_lo, exec_lo, s2
	s_delay_alu instid0(SALU_CYCLE_1)
	s_mov_b32 s2, exec_lo
	s_waitcnt lgkmcnt(0)
	s_barrier
	buffer_gl0_inv
	v_cmpx_eq_u32_e32 0, v0
	s_cbranch_execz .LBB13_46
; %bb.45:
	v_mov_b32_e32 v5, 0
	ds_load_b128 v[1:4], v5
	s_waitcnt lgkmcnt(0)
	v_add_co_u32 v1, vcc_lo, v1, v3
	v_add_co_ci_u32_e32 v2, vcc_lo, v2, v4, vcc_lo
	ds_store_b64 v5, v[1:2]
.LBB13_46:
	s_or_b32 exec_lo, exec_lo, s2
	s_waitcnt lgkmcnt(0)
	s_barrier
.LBB13_47:
	buffer_gl0_inv
	s_mov_b32 s2, exec_lo
	v_cmpx_eq_u32_e32 0, v0
	s_cbranch_execz .LBB13_49
; %bb.48:
	v_mov_b32_e32 v2, 0
	s_load_b64 s[0:1], s[0:1], 0x20
	s_ashr_i32 s9, s8, 31
	s_delay_alu instid0(SALU_CYCLE_1)
	s_lshl_b64 s[2:3], s[8:9], 3
	ds_load_b64 v[0:1], v2
	s_waitcnt lgkmcnt(0)
	s_add_u32 s0, s0, s2
	s_addc_u32 s1, s1, s3
	global_store_b64 v2, v[0:1], s[0:1]
.LBB13_49:
	s_nop 0
	s_sendmsg sendmsg(MSG_DEALLOC_VGPRS)
	s_endpgm
	.section	.rodata,"a",@progbits
	.p2align	6, 0x0
	.amdhsa_kernel _ZN9rocsparseL14nnz_kernel_colILi256Eli18rocsparse_bfloat16EEv16rocsparse_order_T1_S3_PKT2_lPT0_
		.amdhsa_group_segment_fixed_size 2048
		.amdhsa_private_segment_fixed_size 0
		.amdhsa_kernarg_size 40
		.amdhsa_user_sgpr_count 15
		.amdhsa_user_sgpr_dispatch_ptr 0
		.amdhsa_user_sgpr_queue_ptr 0
		.amdhsa_user_sgpr_kernarg_segment_ptr 1
		.amdhsa_user_sgpr_dispatch_id 0
		.amdhsa_user_sgpr_private_segment_size 0
		.amdhsa_wavefront_size32 1
		.amdhsa_uses_dynamic_stack 0
		.amdhsa_enable_private_segment 0
		.amdhsa_system_sgpr_workgroup_id_x 1
		.amdhsa_system_sgpr_workgroup_id_y 0
		.amdhsa_system_sgpr_workgroup_id_z 0
		.amdhsa_system_sgpr_workgroup_info 0
		.amdhsa_system_vgpr_workitem_id 0
		.amdhsa_next_free_vgpr 17
		.amdhsa_next_free_sgpr 16
		.amdhsa_reserve_vcc 1
		.amdhsa_float_round_mode_32 0
		.amdhsa_float_round_mode_16_64 0
		.amdhsa_float_denorm_mode_32 3
		.amdhsa_float_denorm_mode_16_64 3
		.amdhsa_dx10_clamp 1
		.amdhsa_ieee_mode 1
		.amdhsa_fp16_overflow 0
		.amdhsa_workgroup_processor_mode 1
		.amdhsa_memory_ordered 1
		.amdhsa_forward_progress 0
		.amdhsa_shared_vgpr_count 0
		.amdhsa_exception_fp_ieee_invalid_op 0
		.amdhsa_exception_fp_denorm_src 0
		.amdhsa_exception_fp_ieee_div_zero 0
		.amdhsa_exception_fp_ieee_overflow 0
		.amdhsa_exception_fp_ieee_underflow 0
		.amdhsa_exception_fp_ieee_inexact 0
		.amdhsa_exception_int_div_zero 0
	.end_amdhsa_kernel
	.section	.text._ZN9rocsparseL14nnz_kernel_colILi256Eli18rocsparse_bfloat16EEv16rocsparse_order_T1_S3_PKT2_lPT0_,"axG",@progbits,_ZN9rocsparseL14nnz_kernel_colILi256Eli18rocsparse_bfloat16EEv16rocsparse_order_T1_S3_PKT2_lPT0_,comdat
.Lfunc_end13:
	.size	_ZN9rocsparseL14nnz_kernel_colILi256Eli18rocsparse_bfloat16EEv16rocsparse_order_T1_S3_PKT2_lPT0_, .Lfunc_end13-_ZN9rocsparseL14nnz_kernel_colILi256Eli18rocsparse_bfloat16EEv16rocsparse_order_T1_S3_PKT2_lPT0_
                                        ; -- End function
	.section	.AMDGPU.csdata,"",@progbits
; Kernel info:
; codeLenInByte = 1792
; NumSgprs: 18
; NumVgprs: 17
; ScratchSize: 0
; MemoryBound: 0
; FloatMode: 240
; IeeeMode: 1
; LDSByteSize: 2048 bytes/workgroup (compile time only)
; SGPRBlocks: 2
; VGPRBlocks: 2
; NumSGPRsForWavesPerEU: 18
; NumVGPRsForWavesPerEU: 17
; Occupancy: 16
; WaveLimiterHint : 0
; COMPUTE_PGM_RSRC2:SCRATCH_EN: 0
; COMPUTE_PGM_RSRC2:USER_SGPR: 15
; COMPUTE_PGM_RSRC2:TRAP_HANDLER: 0
; COMPUTE_PGM_RSRC2:TGID_X_EN: 1
; COMPUTE_PGM_RSRC2:TGID_Y_EN: 0
; COMPUTE_PGM_RSRC2:TGID_Z_EN: 0
; COMPUTE_PGM_RSRC2:TIDIG_COMP_CNT: 0
	.section	.text._ZN9rocsparseL14nnz_kernel_rowILi64ELi16EliDF16_EEv16rocsparse_order_T2_S2_PKT3_lPT1_,"axG",@progbits,_ZN9rocsparseL14nnz_kernel_rowILi64ELi16EliDF16_EEv16rocsparse_order_T2_S2_PKT3_lPT1_,comdat
	.globl	_ZN9rocsparseL14nnz_kernel_rowILi64ELi16EliDF16_EEv16rocsparse_order_T2_S2_PKT3_lPT1_ ; -- Begin function _ZN9rocsparseL14nnz_kernel_rowILi64ELi16EliDF16_EEv16rocsparse_order_T2_S2_PKT3_lPT1_
	.p2align	8
	.type	_ZN9rocsparseL14nnz_kernel_rowILi64ELi16EliDF16_EEv16rocsparse_order_T2_S2_PKT3_lPT1_,@function
_ZN9rocsparseL14nnz_kernel_rowILi64ELi16EliDF16_EEv16rocsparse_order_T2_S2_PKT3_lPT1_: ; @_ZN9rocsparseL14nnz_kernel_rowILi64ELi16EliDF16_EEv16rocsparse_order_T2_S2_PKT3_lPT1_
; %bb.0:
	s_clause 0x2
	s_load_b32 s2, s[0:1], 0x34
	s_load_b256 s[16:23], s[0:1], 0x0
	s_load_b64 s[6:7], s[0:1], 0x20
	s_mov_b32 s8, 0
	s_lshl_b32 s5, s15, 8
	s_mov_b32 s9, s8
	s_mov_b32 s10, s8
	;; [unrolled: 1-line block ×7, first 2 shown]
	v_and_b32_e32 v1, 0x3ff, v0
	v_bfe_u32 v0, v0, 10, 10
	s_mov_b32 s24, exec_lo
	s_waitcnt lgkmcnt(0)
	s_and_b32 s0, s2, 0xffff
	s_delay_alu instid0(VALU_DEP_1) | instid1(SALU_CYCLE_1)
	v_mad_u32_u24 v20, v0, s0, v1
	s_ashr_i32 s0, s18, 31
	s_delay_alu instid0(SALU_CYCLE_1) | instskip(NEXT) | instid1(SALU_CYCLE_1)
	s_lshr_b32 s0, s0, 26
	s_add_i32 s19, s18, s0
	s_delay_alu instid0(VALU_DEP_1) | instskip(SKIP_2) | instid1(VALU_DEP_2)
	v_lshrrev_b32_e32 v0, 4, v20
	v_and_b32_e32 v21, 63, v20
	s_and_not1_b32 s19, s19, 63
	v_and_b32_e32 v16, 0x7ffffc, v0
	v_dual_mov_b32 v0, s8 :: v_dual_mov_b32 v1, s9
	s_delay_alu instid0(VALU_DEP_3) | instskip(SKIP_3) | instid1(VALU_DEP_4)
	v_or_b32_e32 v18, s5, v21
	v_dual_mov_b32 v2, s10 :: v_dual_mov_b32 v3, s11
	v_dual_mov_b32 v4, s12 :: v_dual_mov_b32 v5, s13
	;; [unrolled: 1-line block ×3, first 2 shown]
	v_or_b32_e32 v24, 64, v18
	v_or_b32_e32 v23, 0x80, v18
	;; [unrolled: 1-line block ×3, first 2 shown]
	v_cmpx_gt_i32_e64 s19, v16
	s_cbranch_execz .LBB14_28
; %bb.1:
	v_lshrrev_b32_e32 v15, 6, v20
	v_cmp_gt_i32_e64 s0, s17, v18
	v_cmp_gt_i32_e64 s1, s17, v24
	;; [unrolled: 1-line block ×4, first 2 shown]
	v_lshlrev_b32_e32 v27, 2, v15
	v_lshlrev_b32_e32 v35, 3, v15
	s_cmp_lg_u32 s16, 1
	s_delay_alu instid0(VALU_DEP_2) | instskip(SKIP_1) | instid1(VALU_DEP_2)
	v_or_b32_e32 v12, 3, v27
	v_or_b32_e32 v19, 2, v27
	v_mad_u64_u32 v[4:5], null, s22, v12, 0
	v_add_nc_u32_e32 v0, s5, v21
	s_delay_alu instid0(VALU_DEP_3) | instskip(NEXT) | instid1(VALU_DEP_2)
	v_mad_u64_u32 v[8:9], null, s22, v19, 0
	v_ashrrev_i32_e32 v1, 31, v0
	s_delay_alu instid0(VALU_DEP_1)
	v_mul_lo_u32 v17, s22, v1
	v_lshlrev_b64 v[6:7], 1, v[0:1]
	v_mov_b32_e32 v1, v5
	v_mad_u64_u32 v[2:3], null, s22, v0, 0
	v_mul_lo_u32 v13, s23, v0
	v_add_nc_u32_e32 v14, 64, v0
	s_delay_alu instid0(VALU_DEP_3) | instskip(SKIP_1) | instid1(VALU_DEP_4)
	v_mad_u64_u32 v[10:11], null, s23, v12, v[1:2]
	v_mov_b32_e32 v1, v9
	v_add3_u32 v3, v3, v17, v13
	s_delay_alu instid0(VALU_DEP_4)
	v_ashrrev_i32_e32 v25, 31, v14
	v_add_nc_u32_e32 v28, 0x80, v0
	v_mul_lo_u32 v26, s23, v14
	v_mad_u64_u32 v[11:12], null, s22, v14, 0
	v_mov_b32_e32 v5, v10
	v_lshlrev_b64 v[2:3], 1, v[2:3]
	v_mul_lo_u32 v25, s22, v25
	v_mad_u64_u32 v[13:14], null, s22, v27, s[22:23]
	s_delay_alu instid0(VALU_DEP_4)
	v_lshlrev_b64 v[4:5], 1, v[4:5]
	v_ashrrev_i32_e32 v29, 31, v28
	v_add_co_u32 v17, vcc_lo, v2, v35
	v_mad_u64_u32 v[9:10], null, s23, v19, v[1:2]
	v_add_co_ci_u32_e32 v19, vcc_lo, 0, v3, vcc_lo
	v_add3_u32 v12, v12, v25, v26
	v_add_co_u32 v25, vcc_lo, v4, v6
	v_add_co_ci_u32_e32 v26, vcc_lo, v5, v7, vcc_lo
	v_mad_u64_u32 v[4:5], null, s22, v28, 0
	v_mov_b32_e32 v3, v14
	v_lshlrev_b64 v[1:2], 1, v[11:12]
	v_mul_lo_u32 v12, s22, v29
	v_mul_lo_u32 v14, s23, v28
	s_delay_alu instid0(VALU_DEP_4) | instskip(SKIP_4) | instid1(VALU_DEP_4)
	v_mad_u64_u32 v[10:11], null, s23, v27, v[3:4]
	v_add_nc_u32_e32 v11, 0xc0, v0
	v_add_co_u32 v27, vcc_lo, v1, v35
	v_add_co_ci_u32_e32 v28, vcc_lo, 0, v2, vcc_lo
	v_lshlrev_b64 v[2:3], 1, v[8:9]
	v_ashrrev_i32_e32 v29, 31, v11
	v_add3_u32 v5, v5, v12, v14
	v_mad_u64_u32 v[0:1], null, s22, v15, 0
	v_mul_lo_u32 v31, s23, v11
	s_delay_alu instid0(VALU_DEP_4)
	v_mul_lo_u32 v12, s22, v29
	v_add_co_u32 v29, vcc_lo, v2, v6
	v_add_co_ci_u32_e32 v30, vcc_lo, v3, v7, vcc_lo
	v_lshlrev_b64 v[2:3], 1, v[4:5]
	v_mad_u64_u32 v[8:9], null, s22, v11, 0
	v_mov_b32_e32 v14, v10
	s_delay_alu instid0(VALU_DEP_3) | instskip(NEXT) | instid1(VALU_DEP_2)
	v_mad_u64_u32 v[4:5], null, s23, v15, v[1:2]
	v_lshlrev_b64 v[10:11], 1, v[13:14]
	s_delay_alu instid0(VALU_DEP_4) | instskip(SKIP_3) | instid1(VALU_DEP_4)
	v_add3_u32 v9, v9, v12, v31
	v_add_co_u32 v31, vcc_lo, v2, v35
	v_add_co_ci_u32_e32 v32, vcc_lo, 0, v3, vcc_lo
	v_mov_b32_e32 v1, v4
	v_lshlrev_b64 v[2:3], 1, v[8:9]
	v_add_co_u32 v33, vcc_lo, v10, v6
	v_add_co_ci_u32_e32 v34, vcc_lo, v11, v7, vcc_lo
	s_delay_alu instid0(VALU_DEP_4) | instskip(NEXT) | instid1(VALU_DEP_4)
	v_lshlrev_b64 v[0:1], 3, v[0:1]
	v_add_co_u32 v35, vcc_lo, v2, v35
	v_add_co_ci_u32_e32 v36, vcc_lo, 0, v3, vcc_lo
	s_delay_alu instid0(VALU_DEP_3) | instskip(NEXT) | instid1(VALU_DEP_4)
	v_add_co_u32 v37, vcc_lo, v0, v6
	v_add_co_ci_u32_e32 v38, vcc_lo, v1, v7, vcc_lo
	v_mov_b32_e32 v0, s8
	v_dual_mov_b32 v6, s14 :: v_dual_mov_b32 v1, s9
	v_dual_mov_b32 v2, s10 :: v_dual_mov_b32 v3, s11
	;; [unrolled: 1-line block ×3, first 2 shown]
	v_mov_b32_e32 v7, s15
	s_cselect_b32 s9, -1, 0
	s_lshl_b64 s[10:11], s[22:23], 7
	s_branch .LBB14_4
.LBB14_2:                               ;   in Loop: Header=BB14_4 Depth=1
	s_delay_alu instid0(VALU_DEP_1) | instskip(NEXT) | instid1(VALU_DEP_3)
	v_dual_mov_b32 v0, v8 :: v_dual_mov_b32 v1, v9
	v_dual_mov_b32 v2, v10 :: v_dual_mov_b32 v3, v11
	;; [unrolled: 1-line block ×4, first 2 shown]
.LBB14_3:                               ;   in Loop: Header=BB14_4 Depth=1
	s_or_b32 exec_lo, exec_lo, s4
	v_add_co_u32 v17, vcc_lo, 0x80, v17
	v_add_co_ci_u32_e32 v19, vcc_lo, 0, v19, vcc_lo
	v_add_co_u32 v25, vcc_lo, v25, s10
	v_add_co_ci_u32_e32 v26, vcc_lo, s11, v26, vcc_lo
	;; [unrolled: 2-line block ×5, first 2 shown]
	v_add_co_u32 v33, vcc_lo, v33, s10
	v_add_nc_u32_e32 v16, 64, v16
	v_add_co_ci_u32_e32 v34, vcc_lo, s11, v34, vcc_lo
	v_add_co_u32 v35, vcc_lo, 0x80, v35
	v_add_co_ci_u32_e32 v36, vcc_lo, 0, v36, vcc_lo
	s_delay_alu instid0(VALU_DEP_4) | instskip(SKIP_1) | instid1(VALU_DEP_1)
	v_cmp_le_i32_e32 vcc_lo, s19, v16
	v_add_co_u32 v37, s4, v37, s10
	v_add_co_ci_u32_e64 v38, s4, s11, v38, s4
	s_or_b32 s8, vcc_lo, s8
	s_delay_alu instid0(SALU_CYCLE_1)
	s_and_not1_b32 exec_lo, exec_lo, s8
	s_cbranch_execz .LBB14_27
.LBB14_4:                               ; =>This Inner Loop Header: Depth=1
	s_and_saveexec_b32 s4, s0
	s_cbranch_execnz .LBB14_8
; %bb.5:                                ;   in Loop: Header=BB14_4 Depth=1
	s_or_b32 exec_lo, exec_lo, s4
	s_and_saveexec_b32 s4, s1
	s_cbranch_execnz .LBB14_13
.LBB14_6:                               ;   in Loop: Header=BB14_4 Depth=1
	s_or_b32 exec_lo, exec_lo, s4
	s_and_saveexec_b32 s4, s2
	s_cbranch_execnz .LBB14_18
.LBB14_7:                               ;   in Loop: Header=BB14_4 Depth=1
	s_or_b32 exec_lo, exec_lo, s4
	s_and_saveexec_b32 s4, s3
	s_cbranch_execz .LBB14_3
	s_branch .LBB14_23
.LBB14_8:                               ;   in Loop: Header=BB14_4 Depth=1
	s_and_not1_b32 vcc_lo, exec_lo, s9
	s_cbranch_vccnz .LBB14_10
; %bb.9:                                ;   in Loop: Header=BB14_4 Depth=1
	v_add_co_u32 v8, vcc_lo, s20, v17
	v_add_co_ci_u32_e32 v9, vcc_lo, s21, v19, vcc_lo
	v_add_co_u32 v10, vcc_lo, v0, 1
	v_add_co_ci_u32_e32 v11, vcc_lo, 0, v1, vcc_lo
	global_load_b64 v[8:9], v[8:9], off
	v_mov_b32_e32 v14, v6
	s_waitcnt vmcnt(0)
	v_cmp_neq_f16_e32 vcc_lo, 0, v8
	v_lshrrev_b32_e32 v8, 16, v8
	v_dual_cndmask_b32 v11, v1, v11 :: v_dual_cndmask_b32 v10, v0, v10
	s_delay_alu instid0(VALU_DEP_1) | instskip(NEXT) | instid1(VALU_DEP_2)
	v_add_co_u32 v12, vcc_lo, v10, 1
	v_add_co_ci_u32_e32 v13, vcc_lo, 0, v11, vcc_lo
	s_delay_alu instid0(VALU_DEP_4) | instskip(NEXT) | instid1(VALU_DEP_3)
	v_cmp_neq_f16_e32 vcc_lo, 0, v8
	v_cndmask_b32_e32 v10, v10, v12, vcc_lo
	s_delay_alu instid0(VALU_DEP_3) | instskip(NEXT) | instid1(VALU_DEP_2)
	v_dual_cndmask_b32 v8, v11, v13 :: v_dual_mov_b32 v13, v5
	v_add_co_u32 v11, vcc_lo, v10, 1
	s_delay_alu instid0(VALU_DEP_2) | instskip(SKIP_2) | instid1(VALU_DEP_3)
	v_add_co_ci_u32_e32 v12, vcc_lo, 0, v8, vcc_lo
	v_cmp_neq_f16_e32 vcc_lo, 0, v9
	v_lshrrev_b32_e32 v9, 16, v9
	v_dual_cndmask_b32 v15, v10, v11 :: v_dual_cndmask_b32 v8, v8, v12
	v_dual_mov_b32 v11, v3 :: v_dual_mov_b32 v12, v4
	s_delay_alu instid0(VALU_DEP_2) | instskip(NEXT) | instid1(VALU_DEP_3)
	v_add_co_u32 v39, vcc_lo, v15, 1
	v_add_co_ci_u32_e32 v40, vcc_lo, 0, v8, vcc_lo
	v_cmp_neq_f16_e32 vcc_lo, 0, v9
	s_delay_alu instid0(VALU_DEP_2) | instskip(NEXT) | instid1(VALU_DEP_4)
	v_dual_mov_b32 v10, v2 :: v_dual_cndmask_b32 v9, v8, v40
	v_cndmask_b32_e32 v8, v15, v39, vcc_lo
	v_mov_b32_e32 v15, v7
	s_cbranch_execz .LBB14_11
	s_branch .LBB14_12
.LBB14_10:                              ;   in Loop: Header=BB14_4 Depth=1
                                        ; implicit-def: $vgpr8_vgpr9_vgpr10_vgpr11_vgpr12_vgpr13_vgpr14_vgpr15
.LBB14_11:                              ;   in Loop: Header=BB14_4 Depth=1
	v_add_co_u32 v8, vcc_lo, s20, v37
	v_add_co_ci_u32_e32 v9, vcc_lo, s21, v38, vcc_lo
	global_load_u16 v10, v[8:9], off
	v_add_co_u32 v8, vcc_lo, s20, v33
	v_add_co_ci_u32_e32 v9, vcc_lo, s21, v34, vcc_lo
	global_load_u16 v11, v[8:9], off
	;; [unrolled: 3-line block ×4, first 2 shown]
	v_add_co_u32 v9, vcc_lo, v0, 1
	v_add_co_ci_u32_e32 v13, vcc_lo, 0, v1, vcc_lo
	s_waitcnt vmcnt(3)
	v_cmp_neq_f16_e32 vcc_lo, 0, v10
	s_delay_alu instid0(VALU_DEP_2) | instskip(SKIP_1) | instid1(VALU_DEP_1)
	v_cndmask_b32_e32 v1, v1, v13, vcc_lo
	v_cndmask_b32_e32 v0, v0, v9, vcc_lo
	v_add_co_u32 v9, vcc_lo, v0, 1
	s_delay_alu instid0(VALU_DEP_3) | instskip(SKIP_2) | instid1(VALU_DEP_2)
	v_add_co_ci_u32_e32 v10, vcc_lo, 0, v1, vcc_lo
	s_waitcnt vmcnt(2)
	v_cmp_neq_f16_e32 vcc_lo, 0, v11
	v_dual_cndmask_b32 v1, v1, v10 :: v_dual_cndmask_b32 v0, v0, v9
	s_delay_alu instid0(VALU_DEP_1) | instskip(NEXT) | instid1(VALU_DEP_2)
	v_add_co_u32 v9, vcc_lo, v0, 1
	v_add_co_ci_u32_e32 v10, vcc_lo, 0, v1, vcc_lo
	s_waitcnt vmcnt(1)
	v_cmp_neq_f16_e32 vcc_lo, 0, v12
	s_delay_alu instid0(VALU_DEP_2) | instskip(NEXT) | instid1(VALU_DEP_1)
	v_dual_cndmask_b32 v1, v1, v10 :: v_dual_cndmask_b32 v0, v0, v9
	v_add_co_u32 v9, vcc_lo, v0, 1
	s_delay_alu instid0(VALU_DEP_2) | instskip(SKIP_2) | instid1(VALU_DEP_2)
	v_add_co_ci_u32_e32 v10, vcc_lo, 0, v1, vcc_lo
	s_waitcnt vmcnt(0)
	v_cmp_neq_f16_e32 vcc_lo, 0, v8
	v_dual_cndmask_b32 v1, v1, v10 :: v_dual_cndmask_b32 v0, v0, v9
	v_dual_mov_b32 v15, v7 :: v_dual_mov_b32 v14, v6
	v_dual_mov_b32 v13, v5 :: v_dual_mov_b32 v12, v4
	;; [unrolled: 1-line block ×3, first 2 shown]
	s_delay_alu instid0(VALU_DEP_4)
	v_dual_mov_b32 v9, v1 :: v_dual_mov_b32 v8, v0
.LBB14_12:                              ;   in Loop: Header=BB14_4 Depth=1
	s_delay_alu instid0(VALU_DEP_1) | instskip(NEXT) | instid1(VALU_DEP_3)
	v_dual_mov_b32 v0, v8 :: v_dual_mov_b32 v1, v9
	v_dual_mov_b32 v2, v10 :: v_dual_mov_b32 v3, v11
	;; [unrolled: 1-line block ×4, first 2 shown]
	s_or_b32 exec_lo, exec_lo, s4
	s_and_saveexec_b32 s4, s1
	s_cbranch_execz .LBB14_6
.LBB14_13:                              ;   in Loop: Header=BB14_4 Depth=1
	s_and_not1_b32 vcc_lo, exec_lo, s9
	s_cbranch_vccnz .LBB14_15
; %bb.14:                               ;   in Loop: Header=BB14_4 Depth=1
	v_add_co_u32 v8, vcc_lo, s20, v27
	v_add_co_ci_u32_e32 v9, vcc_lo, s21, v28, vcc_lo
	v_mov_b32_e32 v14, v6
	global_load_b64 v[9:10], v[8:9], off
	v_add_co_u32 v8, vcc_lo, v2, 1
	v_add_co_ci_u32_e32 v11, vcc_lo, 0, v3, vcc_lo
	s_waitcnt vmcnt(0)
	v_cmp_neq_f16_e32 vcc_lo, 0, v9
	v_lshrrev_b32_e32 v9, 16, v9
	s_delay_alu instid0(VALU_DEP_3) | instskip(NEXT) | instid1(VALU_DEP_1)
	v_dual_cndmask_b32 v11, v3, v11 :: v_dual_cndmask_b32 v8, v2, v8
	v_add_co_u32 v12, vcc_lo, v8, 1
	s_delay_alu instid0(VALU_DEP_2) | instskip(NEXT) | instid1(VALU_DEP_4)
	v_add_co_ci_u32_e32 v13, vcc_lo, 0, v11, vcc_lo
	v_cmp_neq_f16_e32 vcc_lo, 0, v9
	s_delay_alu instid0(VALU_DEP_2) | instskip(NEXT) | instid1(VALU_DEP_1)
	v_dual_cndmask_b32 v9, v11, v13 :: v_dual_cndmask_b32 v8, v8, v12
	v_add_co_u32 v11, vcc_lo, v8, 1
	s_delay_alu instid0(VALU_DEP_2) | instskip(SKIP_2) | instid1(VALU_DEP_4)
	v_add_co_ci_u32_e32 v12, vcc_lo, 0, v9, vcc_lo
	v_cmp_neq_f16_e32 vcc_lo, 0, v10
	v_lshrrev_b32_e32 v10, 16, v10
	v_cndmask_b32_e32 v39, v8, v11, vcc_lo
	s_delay_alu instid0(VALU_DEP_4) | instskip(SKIP_1) | instid1(VALU_DEP_3)
	v_dual_cndmask_b32 v15, v9, v12 :: v_dual_mov_b32 v8, v0
	v_dual_mov_b32 v9, v1 :: v_dual_mov_b32 v12, v4
	v_add_co_u32 v40, vcc_lo, v39, 1
	s_delay_alu instid0(VALU_DEP_3) | instskip(SKIP_1) | instid1(VALU_DEP_3)
	v_add_co_ci_u32_e32 v11, vcc_lo, 0, v15, vcc_lo
	v_cmp_neq_f16_e32 vcc_lo, 0, v10
	v_dual_mov_b32 v13, v5 :: v_dual_cndmask_b32 v10, v39, v40
	s_delay_alu instid0(VALU_DEP_3)
	v_cndmask_b32_e32 v11, v15, v11, vcc_lo
	v_mov_b32_e32 v15, v7
	s_cbranch_execz .LBB14_16
	s_branch .LBB14_17
.LBB14_15:                              ;   in Loop: Header=BB14_4 Depth=1
                                        ; implicit-def: $vgpr8_vgpr9_vgpr10_vgpr11_vgpr12_vgpr13_vgpr14_vgpr15
.LBB14_16:                              ;   in Loop: Header=BB14_4 Depth=1
	v_add_co_u32 v8, vcc_lo, s20, v37
	v_add_co_ci_u32_e32 v9, vcc_lo, s21, v38, vcc_lo
	global_load_u16 v10, v[8:9], off offset:128
	v_add_co_u32 v8, vcc_lo, s20, v33
	v_add_co_ci_u32_e32 v9, vcc_lo, s21, v34, vcc_lo
	global_load_u16 v11, v[8:9], off offset:128
	;; [unrolled: 3-line block ×4, first 2 shown]
	v_add_co_u32 v9, vcc_lo, v2, 1
	v_add_co_ci_u32_e32 v13, vcc_lo, 0, v3, vcc_lo
	s_waitcnt vmcnt(3)
	v_cmp_neq_f16_e32 vcc_lo, 0, v10
	s_delay_alu instid0(VALU_DEP_2) | instskip(SKIP_1) | instid1(VALU_DEP_1)
	v_cndmask_b32_e32 v3, v3, v13, vcc_lo
	v_cndmask_b32_e32 v2, v2, v9, vcc_lo
	v_add_co_u32 v9, vcc_lo, v2, 1
	s_delay_alu instid0(VALU_DEP_3) | instskip(SKIP_2) | instid1(VALU_DEP_2)
	v_add_co_ci_u32_e32 v10, vcc_lo, 0, v3, vcc_lo
	s_waitcnt vmcnt(2)
	v_cmp_neq_f16_e32 vcc_lo, 0, v11
	v_dual_cndmask_b32 v3, v3, v10 :: v_dual_cndmask_b32 v2, v2, v9
	s_delay_alu instid0(VALU_DEP_1) | instskip(NEXT) | instid1(VALU_DEP_2)
	v_add_co_u32 v9, vcc_lo, v2, 1
	v_add_co_ci_u32_e32 v10, vcc_lo, 0, v3, vcc_lo
	s_waitcnt vmcnt(1)
	v_cmp_neq_f16_e32 vcc_lo, 0, v12
	s_delay_alu instid0(VALU_DEP_2) | instskip(NEXT) | instid1(VALU_DEP_1)
	v_dual_cndmask_b32 v3, v3, v10 :: v_dual_cndmask_b32 v2, v2, v9
	v_add_co_u32 v9, vcc_lo, v2, 1
	s_delay_alu instid0(VALU_DEP_2) | instskip(SKIP_2) | instid1(VALU_DEP_2)
	v_add_co_ci_u32_e32 v10, vcc_lo, 0, v3, vcc_lo
	s_waitcnt vmcnt(0)
	v_cmp_neq_f16_e32 vcc_lo, 0, v8
	v_dual_cndmask_b32 v3, v3, v10 :: v_dual_cndmask_b32 v2, v2, v9
	v_dual_mov_b32 v15, v7 :: v_dual_mov_b32 v14, v6
	v_dual_mov_b32 v13, v5 :: v_dual_mov_b32 v12, v4
	s_delay_alu instid0(VALU_DEP_3)
	v_dual_mov_b32 v11, v3 :: v_dual_mov_b32 v10, v2
	v_dual_mov_b32 v9, v1 :: v_dual_mov_b32 v8, v0
.LBB14_17:                              ;   in Loop: Header=BB14_4 Depth=1
	s_delay_alu instid0(VALU_DEP_1) | instskip(NEXT) | instid1(VALU_DEP_3)
	v_dual_mov_b32 v0, v8 :: v_dual_mov_b32 v1, v9
	v_dual_mov_b32 v2, v10 :: v_dual_mov_b32 v3, v11
	;; [unrolled: 1-line block ×4, first 2 shown]
	s_or_b32 exec_lo, exec_lo, s4
	s_and_saveexec_b32 s4, s2
	s_cbranch_execz .LBB14_7
.LBB14_18:                              ;   in Loop: Header=BB14_4 Depth=1
	s_and_not1_b32 vcc_lo, exec_lo, s9
	s_cbranch_vccnz .LBB14_20
; %bb.19:                               ;   in Loop: Header=BB14_4 Depth=1
	v_add_co_u32 v8, vcc_lo, s20, v31
	v_add_co_ci_u32_e32 v9, vcc_lo, s21, v32, vcc_lo
	global_load_b64 v[9:10], v[8:9], off
	v_add_co_u32 v8, vcc_lo, v4, 1
	v_add_co_ci_u32_e32 v11, vcc_lo, 0, v5, vcc_lo
	s_waitcnt vmcnt(0)
	v_cmp_neq_f16_e32 vcc_lo, 0, v9
	v_lshrrev_b32_e32 v9, 16, v9
	s_delay_alu instid0(VALU_DEP_3) | instskip(NEXT) | instid1(VALU_DEP_1)
	v_dual_cndmask_b32 v11, v5, v11 :: v_dual_cndmask_b32 v8, v4, v8
	v_add_co_u32 v12, vcc_lo, v8, 1
	s_delay_alu instid0(VALU_DEP_2) | instskip(NEXT) | instid1(VALU_DEP_4)
	v_add_co_ci_u32_e32 v13, vcc_lo, 0, v11, vcc_lo
	v_cmp_neq_f16_e32 vcc_lo, 0, v9
	s_delay_alu instid0(VALU_DEP_2) | instskip(NEXT) | instid1(VALU_DEP_1)
	v_dual_cndmask_b32 v9, v11, v13 :: v_dual_cndmask_b32 v8, v8, v12
	v_add_co_u32 v11, vcc_lo, v8, 1
	s_delay_alu instid0(VALU_DEP_2) | instskip(SKIP_2) | instid1(VALU_DEP_3)
	v_add_co_ci_u32_e32 v12, vcc_lo, 0, v9, vcc_lo
	v_cmp_neq_f16_e32 vcc_lo, 0, v10
	v_lshrrev_b32_e32 v10, 16, v10
	v_dual_cndmask_b32 v12, v9, v12 :: v_dual_cndmask_b32 v15, v8, v11
	v_dual_mov_b32 v8, v0 :: v_dual_mov_b32 v9, v1
	v_mov_b32_e32 v11, v3
	s_delay_alu instid0(VALU_DEP_3) | instskip(NEXT) | instid1(VALU_DEP_4)
	v_add_co_u32 v39, vcc_lo, v15, 1
	v_add_co_ci_u32_e32 v13, vcc_lo, 0, v12, vcc_lo
	v_cmp_neq_f16_e32 vcc_lo, 0, v10
	v_mov_b32_e32 v10, v2
	s_delay_alu instid0(VALU_DEP_3)
	v_dual_mov_b32 v14, v6 :: v_dual_cndmask_b32 v13, v12, v13
	v_cndmask_b32_e32 v12, v15, v39, vcc_lo
	v_mov_b32_e32 v15, v7
	s_cbranch_execz .LBB14_21
	s_branch .LBB14_22
.LBB14_20:                              ;   in Loop: Header=BB14_4 Depth=1
                                        ; implicit-def: $vgpr8_vgpr9_vgpr10_vgpr11_vgpr12_vgpr13_vgpr14_vgpr15
.LBB14_21:                              ;   in Loop: Header=BB14_4 Depth=1
	v_add_co_u32 v8, vcc_lo, s20, v37
	v_add_co_ci_u32_e32 v9, vcc_lo, s21, v38, vcc_lo
	global_load_u16 v10, v[8:9], off offset:256
	v_add_co_u32 v8, vcc_lo, s20, v33
	v_add_co_ci_u32_e32 v9, vcc_lo, s21, v34, vcc_lo
	global_load_u16 v11, v[8:9], off offset:256
	;; [unrolled: 3-line block ×4, first 2 shown]
	v_add_co_u32 v9, vcc_lo, v4, 1
	v_add_co_ci_u32_e32 v13, vcc_lo, 0, v5, vcc_lo
	s_waitcnt vmcnt(3)
	v_cmp_neq_f16_e32 vcc_lo, 0, v10
	s_delay_alu instid0(VALU_DEP_2) | instskip(SKIP_1) | instid1(VALU_DEP_1)
	v_cndmask_b32_e32 v5, v5, v13, vcc_lo
	v_cndmask_b32_e32 v4, v4, v9, vcc_lo
	v_add_co_u32 v9, vcc_lo, v4, 1
	s_delay_alu instid0(VALU_DEP_3) | instskip(SKIP_2) | instid1(VALU_DEP_2)
	v_add_co_ci_u32_e32 v10, vcc_lo, 0, v5, vcc_lo
	s_waitcnt vmcnt(2)
	v_cmp_neq_f16_e32 vcc_lo, 0, v11
	v_dual_cndmask_b32 v5, v5, v10 :: v_dual_cndmask_b32 v4, v4, v9
	s_delay_alu instid0(VALU_DEP_1) | instskip(NEXT) | instid1(VALU_DEP_2)
	v_add_co_u32 v9, vcc_lo, v4, 1
	v_add_co_ci_u32_e32 v10, vcc_lo, 0, v5, vcc_lo
	s_waitcnt vmcnt(1)
	v_cmp_neq_f16_e32 vcc_lo, 0, v12
	s_delay_alu instid0(VALU_DEP_2) | instskip(NEXT) | instid1(VALU_DEP_1)
	v_dual_cndmask_b32 v5, v5, v10 :: v_dual_cndmask_b32 v4, v4, v9
	v_add_co_u32 v9, vcc_lo, v4, 1
	s_delay_alu instid0(VALU_DEP_2) | instskip(SKIP_2) | instid1(VALU_DEP_2)
	v_add_co_ci_u32_e32 v10, vcc_lo, 0, v5, vcc_lo
	s_waitcnt vmcnt(0)
	v_cmp_neq_f16_e32 vcc_lo, 0, v8
	v_dual_cndmask_b32 v5, v5, v10 :: v_dual_cndmask_b32 v4, v4, v9
	v_dual_mov_b32 v15, v7 :: v_dual_mov_b32 v14, v6
	v_dual_mov_b32 v11, v3 :: v_dual_mov_b32 v10, v2
	s_delay_alu instid0(VALU_DEP_3)
	v_dual_mov_b32 v13, v5 :: v_dual_mov_b32 v12, v4
	v_dual_mov_b32 v9, v1 :: v_dual_mov_b32 v8, v0
.LBB14_22:                              ;   in Loop: Header=BB14_4 Depth=1
	s_delay_alu instid0(VALU_DEP_1) | instskip(NEXT) | instid1(VALU_DEP_4)
	v_dual_mov_b32 v0, v8 :: v_dual_mov_b32 v1, v9
	v_dual_mov_b32 v2, v10 :: v_dual_mov_b32 v3, v11
	s_delay_alu instid0(VALU_DEP_4)
	v_dual_mov_b32 v4, v12 :: v_dual_mov_b32 v5, v13
	v_dual_mov_b32 v6, v14 :: v_dual_mov_b32 v7, v15
	s_or_b32 exec_lo, exec_lo, s4
	s_and_saveexec_b32 s4, s3
	s_cbranch_execz .LBB14_3
.LBB14_23:                              ;   in Loop: Header=BB14_4 Depth=1
	s_and_not1_b32 vcc_lo, exec_lo, s9
	s_cbranch_vccnz .LBB14_25
; %bb.24:                               ;   in Loop: Header=BB14_4 Depth=1
	v_add_co_u32 v8, vcc_lo, s20, v35
	v_add_co_ci_u32_e32 v9, vcc_lo, s21, v36, vcc_lo
	global_load_b64 v[9:10], v[8:9], off
	v_add_co_u32 v8, vcc_lo, v6, 1
	v_add_co_ci_u32_e32 v11, vcc_lo, 0, v7, vcc_lo
	s_waitcnt vmcnt(0)
	v_cmp_neq_f16_e32 vcc_lo, 0, v9
	v_lshrrev_b32_e32 v9, 16, v9
	s_delay_alu instid0(VALU_DEP_3) | instskip(NEXT) | instid1(VALU_DEP_1)
	v_dual_cndmask_b32 v11, v7, v11 :: v_dual_cndmask_b32 v8, v6, v8
	v_add_co_u32 v12, vcc_lo, v8, 1
	s_delay_alu instid0(VALU_DEP_2) | instskip(NEXT) | instid1(VALU_DEP_4)
	v_add_co_ci_u32_e32 v13, vcc_lo, 0, v11, vcc_lo
	v_cmp_neq_f16_e32 vcc_lo, 0, v9
	s_delay_alu instid0(VALU_DEP_2) | instskip(NEXT) | instid1(VALU_DEP_1)
	v_dual_cndmask_b32 v9, v11, v13 :: v_dual_cndmask_b32 v8, v8, v12
	v_add_co_u32 v11, vcc_lo, v8, 1
	s_delay_alu instid0(VALU_DEP_2) | instskip(SKIP_2) | instid1(VALU_DEP_3)
	v_add_co_ci_u32_e32 v12, vcc_lo, 0, v9, vcc_lo
	v_cmp_neq_f16_e32 vcc_lo, 0, v10
	v_lshrrev_b32_e32 v10, 16, v10
	v_dual_cndmask_b32 v13, v9, v12 :: v_dual_cndmask_b32 v14, v8, v11
	v_dual_mov_b32 v8, v0 :: v_dual_mov_b32 v9, v1
	v_mov_b32_e32 v11, v3
	s_delay_alu instid0(VALU_DEP_3) | instskip(NEXT) | instid1(VALU_DEP_4)
	v_add_co_u32 v39, vcc_lo, v14, 1
	v_add_co_ci_u32_e32 v15, vcc_lo, 0, v13, vcc_lo
	v_cmp_neq_f16_e32 vcc_lo, 0, v10
	v_mov_b32_e32 v10, v2
	s_delay_alu instid0(VALU_DEP_3)
	v_dual_mov_b32 v12, v4 :: v_dual_cndmask_b32 v15, v13, v15
	v_dual_cndmask_b32 v14, v14, v39 :: v_dual_mov_b32 v13, v5
	s_cbranch_execnz .LBB14_2
	s_branch .LBB14_26
.LBB14_25:                              ;   in Loop: Header=BB14_4 Depth=1
                                        ; implicit-def: $vgpr8_vgpr9_vgpr10_vgpr11_vgpr12_vgpr13_vgpr14_vgpr15
.LBB14_26:                              ;   in Loop: Header=BB14_4 Depth=1
	v_add_co_u32 v8, vcc_lo, s20, v37
	v_add_co_ci_u32_e32 v9, vcc_lo, s21, v38, vcc_lo
	global_load_u16 v10, v[8:9], off offset:384
	v_add_co_u32 v8, vcc_lo, s20, v33
	v_add_co_ci_u32_e32 v9, vcc_lo, s21, v34, vcc_lo
	global_load_u16 v11, v[8:9], off offset:384
	;; [unrolled: 3-line block ×4, first 2 shown]
	v_add_co_u32 v9, vcc_lo, v6, 1
	v_add_co_ci_u32_e32 v13, vcc_lo, 0, v7, vcc_lo
	s_waitcnt vmcnt(3)
	v_cmp_neq_f16_e32 vcc_lo, 0, v10
	s_delay_alu instid0(VALU_DEP_2) | instskip(SKIP_1) | instid1(VALU_DEP_1)
	v_cndmask_b32_e32 v7, v7, v13, vcc_lo
	v_cndmask_b32_e32 v6, v6, v9, vcc_lo
	v_add_co_u32 v9, vcc_lo, v6, 1
	s_delay_alu instid0(VALU_DEP_3) | instskip(SKIP_2) | instid1(VALU_DEP_2)
	v_add_co_ci_u32_e32 v10, vcc_lo, 0, v7, vcc_lo
	s_waitcnt vmcnt(2)
	v_cmp_neq_f16_e32 vcc_lo, 0, v11
	v_dual_cndmask_b32 v7, v7, v10 :: v_dual_cndmask_b32 v6, v6, v9
	s_delay_alu instid0(VALU_DEP_1) | instskip(NEXT) | instid1(VALU_DEP_2)
	v_add_co_u32 v9, vcc_lo, v6, 1
	v_add_co_ci_u32_e32 v10, vcc_lo, 0, v7, vcc_lo
	s_waitcnt vmcnt(1)
	v_cmp_neq_f16_e32 vcc_lo, 0, v12
	s_delay_alu instid0(VALU_DEP_2) | instskip(NEXT) | instid1(VALU_DEP_1)
	v_dual_cndmask_b32 v7, v7, v10 :: v_dual_cndmask_b32 v6, v6, v9
	v_add_co_u32 v9, vcc_lo, v6, 1
	s_delay_alu instid0(VALU_DEP_2) | instskip(SKIP_2) | instid1(VALU_DEP_2)
	v_add_co_ci_u32_e32 v10, vcc_lo, 0, v7, vcc_lo
	s_waitcnt vmcnt(0)
	v_cmp_neq_f16_e32 vcc_lo, 0, v8
	v_dual_cndmask_b32 v7, v7, v10 :: v_dual_cndmask_b32 v6, v6, v9
	s_delay_alu instid0(VALU_DEP_1)
	v_dual_mov_b32 v15, v7 :: v_dual_mov_b32 v14, v6
	v_dual_mov_b32 v13, v5 :: v_dual_mov_b32 v12, v4
	;; [unrolled: 1-line block ×4, first 2 shown]
	s_branch .LBB14_2
.LBB14_27:
	s_or_b32 exec_lo, exec_lo, s8
.LBB14_28:
	s_delay_alu instid0(SALU_CYCLE_1) | instskip(SKIP_1) | instid1(SALU_CYCLE_1)
	s_or_b32 exec_lo, exec_lo, s24
	s_sub_i32 s0, s18, s19
	s_cmp_lt_i32 s0, 1
	s_cbranch_scc1 .LBB14_126
; %bb.29:
	v_mov_b32_e32 v17, 0
	s_cmp_eq_u32 s16, 1
	v_ashrrev_i32_e32 v19, 31, v18
	s_cselect_b32 s1, -1, 0
	s_cmp_lg_u32 s16, 1
	v_lshlrev_b64 v[8:9], 1, v[16:17]
	s_mov_b32 s2, exec_lo
	s_delay_alu instid0(VALU_DEP_1) | instskip(NEXT) | instid1(VALU_DEP_1)
	v_add_co_u32 v12, s0, s20, v8
	v_add_co_ci_u32_e64 v13, s0, s21, v9, s0
	s_cselect_b32 s0, -1, 0
	v_cmpx_gt_i32_e64 s17, v18
	s_cbranch_execnz .LBB14_33
; %bb.30:
	s_or_b32 exec_lo, exec_lo, s2
	s_delay_alu instid0(SALU_CYCLE_1)
	s_mov_b32 s2, exec_lo
	v_cmpx_gt_i32_e64 s17, v24
	s_cbranch_execnz .LBB14_56
.LBB14_31:
	s_or_b32 exec_lo, exec_lo, s2
	s_delay_alu instid0(SALU_CYCLE_1)
	s_mov_b32 s2, exec_lo
	v_cmpx_gt_i32_e64 s17, v23
	s_cbranch_execnz .LBB14_79
.LBB14_32:
	s_or_b32 exec_lo, exec_lo, s2
	s_delay_alu instid0(SALU_CYCLE_1)
	s_mov_b32 s2, exec_lo
	v_cmpx_gt_i32_e64 s17, v22
	s_cbranch_execnz .LBB14_102
	s_branch .LBB14_125
.LBB14_33:
	v_mul_lo_u32 v10, v18, s23
	v_mul_lo_u32 v11, v19, s22
	v_mad_u64_u32 v[8:9], null, v18, s22, 0
	s_mov_b32 s3, exec_lo
	s_delay_alu instid0(VALU_DEP_1) | instskip(SKIP_1) | instid1(VALU_DEP_2)
	v_add3_u32 v9, v9, v10, v11
	v_lshlrev_b64 v[10:11], 1, v[18:19]
	v_lshlrev_b64 v[8:9], 1, v[8:9]
	s_delay_alu instid0(VALU_DEP_2) | instskip(NEXT) | instid1(VALU_DEP_3)
	v_add_co_u32 v14, vcc_lo, s20, v10
	v_add_co_ci_u32_e32 v15, vcc_lo, s21, v11, vcc_lo
	s_delay_alu instid0(VALU_DEP_3) | instskip(NEXT) | instid1(VALU_DEP_4)
	v_add_co_u32 v8, vcc_lo, v12, v8
	v_add_co_ci_u32_e32 v9, vcc_lo, v13, v9, vcc_lo
	v_cmpx_gt_i32_e64 s18, v16
	s_cbranch_execz .LBB14_37
; %bb.34:
	s_delay_alu instid0(VALU_DEP_2)
	v_dual_mov_b32 v11, v9 :: v_dual_mov_b32 v10, v8
	s_and_not1_b32 vcc_lo, exec_lo, s1
	s_cbranch_vccnz .LBB14_36
; %bb.35:
	v_mad_u64_u32 v[10:11], null, v16, s22, 0
	s_delay_alu instid0(VALU_DEP_1) | instskip(NEXT) | instid1(VALU_DEP_1)
	v_mad_u64_u32 v[25:26], null, v16, s23, v[11:12]
	v_mov_b32_e32 v11, v25
	s_delay_alu instid0(VALU_DEP_1) | instskip(NEXT) | instid1(VALU_DEP_1)
	v_lshlrev_b64 v[10:11], 1, v[10:11]
	v_add_co_u32 v10, vcc_lo, v14, v10
	s_delay_alu instid0(VALU_DEP_2)
	v_add_co_ci_u32_e32 v11, vcc_lo, v15, v11, vcc_lo
.LBB14_36:
	global_load_u16 v10, v[10:11], off
	s_waitcnt vmcnt(0)
	v_cmp_neq_f16_e32 vcc_lo, 0, v10
	v_cndmask_b32_e64 v10, 0, 1, vcc_lo
	s_delay_alu instid0(VALU_DEP_1)
	v_add_co_u32 v0, vcc_lo, v0, v10
	v_add_co_ci_u32_e32 v1, vcc_lo, 0, v1, vcc_lo
.LBB14_37:
	s_or_b32 exec_lo, exec_lo, s3
	v_or_b32_e32 v17, 1, v16
	s_mov_b32 s3, exec_lo
	s_delay_alu instid0(VALU_DEP_1)
	v_cmpx_gt_i32_e64 s18, v17
	s_cbranch_execz .LBB14_43
; %bb.38:
	s_and_not1_b32 vcc_lo, exec_lo, s0
	s_cbranch_vccnz .LBB14_40
; %bb.39:
	v_add_co_u32 v10, vcc_lo, v8, 2
	v_add_co_ci_u32_e32 v11, vcc_lo, 0, v9, vcc_lo
	s_cbranch_execz .LBB14_41
	s_branch .LBB14_42
.LBB14_40:
                                        ; implicit-def: $vgpr10_vgpr11
.LBB14_41:
	v_mad_u64_u32 v[10:11], null, v17, s22, 0
	s_delay_alu instid0(VALU_DEP_1) | instskip(NEXT) | instid1(VALU_DEP_1)
	v_mad_u64_u32 v[25:26], null, v17, s23, v[11:12]
	v_mov_b32_e32 v11, v25
	s_delay_alu instid0(VALU_DEP_1) | instskip(NEXT) | instid1(VALU_DEP_1)
	v_lshlrev_b64 v[10:11], 1, v[10:11]
	v_add_co_u32 v10, vcc_lo, v14, v10
	s_delay_alu instid0(VALU_DEP_2)
	v_add_co_ci_u32_e32 v11, vcc_lo, v15, v11, vcc_lo
.LBB14_42:
	global_load_u16 v10, v[10:11], off
	s_waitcnt vmcnt(0)
	v_cmp_neq_f16_e32 vcc_lo, 0, v10
	v_cndmask_b32_e64 v10, 0, 1, vcc_lo
	s_delay_alu instid0(VALU_DEP_1)
	v_add_co_u32 v0, vcc_lo, v0, v10
	v_add_co_ci_u32_e32 v1, vcc_lo, 0, v1, vcc_lo
.LBB14_43:
	s_or_b32 exec_lo, exec_lo, s3
	v_or_b32_e32 v17, 2, v16
	s_mov_b32 s3, exec_lo
	s_delay_alu instid0(VALU_DEP_1)
	v_cmpx_gt_i32_e64 s18, v17
	s_cbranch_execz .LBB14_49
; %bb.44:
	s_and_not1_b32 vcc_lo, exec_lo, s0
	s_cbranch_vccnz .LBB14_46
; %bb.45:
	v_add_co_u32 v10, vcc_lo, v8, 4
	v_add_co_ci_u32_e32 v11, vcc_lo, 0, v9, vcc_lo
	s_cbranch_execz .LBB14_47
	s_branch .LBB14_48
.LBB14_46:
                                        ; implicit-def: $vgpr10_vgpr11
.LBB14_47:
	v_mad_u64_u32 v[10:11], null, v17, s22, 0
	s_delay_alu instid0(VALU_DEP_1) | instskip(NEXT) | instid1(VALU_DEP_1)
	v_mad_u64_u32 v[25:26], null, v17, s23, v[11:12]
	v_mov_b32_e32 v11, v25
	s_delay_alu instid0(VALU_DEP_1) | instskip(NEXT) | instid1(VALU_DEP_1)
	v_lshlrev_b64 v[10:11], 1, v[10:11]
	v_add_co_u32 v10, vcc_lo, v14, v10
	s_delay_alu instid0(VALU_DEP_2)
	v_add_co_ci_u32_e32 v11, vcc_lo, v15, v11, vcc_lo
.LBB14_48:
	global_load_u16 v10, v[10:11], off
	s_waitcnt vmcnt(0)
	v_cmp_neq_f16_e32 vcc_lo, 0, v10
	v_cndmask_b32_e64 v10, 0, 1, vcc_lo
	s_delay_alu instid0(VALU_DEP_1)
	v_add_co_u32 v0, vcc_lo, v0, v10
	v_add_co_ci_u32_e32 v1, vcc_lo, 0, v1, vcc_lo
.LBB14_49:
	s_or_b32 exec_lo, exec_lo, s3
	v_or_b32_e32 v10, 3, v16
	s_mov_b32 s3, exec_lo
	s_delay_alu instid0(VALU_DEP_1)
	v_cmpx_gt_i32_e64 s18, v10
	s_cbranch_execz .LBB14_55
; %bb.50:
	s_and_not1_b32 vcc_lo, exec_lo, s0
	s_cbranch_vccnz .LBB14_52
; %bb.51:
	v_add_co_u32 v8, vcc_lo, v8, 6
	v_add_co_ci_u32_e32 v9, vcc_lo, 0, v9, vcc_lo
	s_cbranch_execz .LBB14_53
	s_branch .LBB14_54
.LBB14_52:
                                        ; implicit-def: $vgpr8_vgpr9
.LBB14_53:
	v_mad_u64_u32 v[8:9], null, v10, s22, 0
	s_delay_alu instid0(VALU_DEP_1) | instskip(NEXT) | instid1(VALU_DEP_1)
	v_mad_u64_u32 v[25:26], null, v10, s23, v[9:10]
	v_mov_b32_e32 v9, v25
	s_delay_alu instid0(VALU_DEP_1) | instskip(NEXT) | instid1(VALU_DEP_1)
	v_lshlrev_b64 v[8:9], 1, v[8:9]
	v_add_co_u32 v8, vcc_lo, v14, v8
	s_delay_alu instid0(VALU_DEP_2)
	v_add_co_ci_u32_e32 v9, vcc_lo, v15, v9, vcc_lo
.LBB14_54:
	global_load_u16 v8, v[8:9], off
	s_waitcnt vmcnt(0)
	v_cmp_neq_f16_e32 vcc_lo, 0, v8
	v_cndmask_b32_e64 v8, 0, 1, vcc_lo
	s_delay_alu instid0(VALU_DEP_1)
	v_add_co_u32 v0, vcc_lo, v0, v8
	v_add_co_ci_u32_e32 v1, vcc_lo, 0, v1, vcc_lo
.LBB14_55:
	s_or_b32 exec_lo, exec_lo, s3
	s_delay_alu instid0(SALU_CYCLE_1) | instskip(NEXT) | instid1(SALU_CYCLE_1)
	s_or_b32 exec_lo, exec_lo, s2
	s_mov_b32 s2, exec_lo
	v_cmpx_gt_i32_e64 s17, v24
	s_cbranch_execz .LBB14_31
.LBB14_56:
	v_ashrrev_i32_e32 v10, 31, v24
	v_mul_lo_u32 v11, v24, s23
	v_mad_u64_u32 v[8:9], null, v24, s22, 0
	s_mov_b32 s3, exec_lo
	s_delay_alu instid0(VALU_DEP_3) | instskip(NEXT) | instid1(VALU_DEP_1)
	v_mul_lo_u32 v10, v10, s22
	v_add3_u32 v9, v9, v11, v10
	v_lshlrev_b64 v[10:11], 1, v[18:19]
	s_delay_alu instid0(VALU_DEP_2) | instskip(NEXT) | instid1(VALU_DEP_2)
	v_lshlrev_b64 v[8:9], 1, v[8:9]
	v_add_co_u32 v14, vcc_lo, s20, v10
	s_delay_alu instid0(VALU_DEP_3) | instskip(NEXT) | instid1(VALU_DEP_3)
	v_add_co_ci_u32_e32 v15, vcc_lo, s21, v11, vcc_lo
	v_add_co_u32 v8, vcc_lo, v12, v8
	s_delay_alu instid0(VALU_DEP_4)
	v_add_co_ci_u32_e32 v9, vcc_lo, v13, v9, vcc_lo
	v_cmpx_gt_i32_e64 s18, v16
	s_cbranch_execz .LBB14_60
; %bb.57:
	s_delay_alu instid0(VALU_DEP_2)
	v_dual_mov_b32 v11, v9 :: v_dual_mov_b32 v10, v8
	s_and_not1_b32 vcc_lo, exec_lo, s1
	s_cbranch_vccnz .LBB14_59
; %bb.58:
	v_mad_u64_u32 v[10:11], null, v16, s22, 0
	s_delay_alu instid0(VALU_DEP_1) | instskip(NEXT) | instid1(VALU_DEP_1)
	v_mad_u64_u32 v[24:25], null, v16, s23, v[11:12]
	v_mov_b32_e32 v11, v24
	s_delay_alu instid0(VALU_DEP_1) | instskip(NEXT) | instid1(VALU_DEP_1)
	v_lshlrev_b64 v[10:11], 1, v[10:11]
	v_add_co_u32 v10, vcc_lo, v14, v10
	s_delay_alu instid0(VALU_DEP_2) | instskip(NEXT) | instid1(VALU_DEP_2)
	v_add_co_ci_u32_e32 v11, vcc_lo, v15, v11, vcc_lo
	v_add_co_u32 v10, vcc_lo, 0x80, v10
	s_delay_alu instid0(VALU_DEP_2)
	v_add_co_ci_u32_e32 v11, vcc_lo, 0, v11, vcc_lo
.LBB14_59:
	global_load_u16 v10, v[10:11], off
	s_waitcnt vmcnt(0)
	v_cmp_neq_f16_e32 vcc_lo, 0, v10
	v_cndmask_b32_e64 v10, 0, 1, vcc_lo
	s_delay_alu instid0(VALU_DEP_1)
	v_add_co_u32 v2, vcc_lo, v2, v10
	v_add_co_ci_u32_e32 v3, vcc_lo, 0, v3, vcc_lo
.LBB14_60:
	s_or_b32 exec_lo, exec_lo, s3
	v_or_b32_e32 v17, 1, v16
	s_mov_b32 s3, exec_lo
	s_delay_alu instid0(VALU_DEP_1)
	v_cmpx_gt_i32_e64 s18, v17
	s_cbranch_execz .LBB14_66
; %bb.61:
	s_and_not1_b32 vcc_lo, exec_lo, s0
	s_cbranch_vccnz .LBB14_63
; %bb.62:
	v_add_co_u32 v10, vcc_lo, v8, 2
	v_add_co_ci_u32_e32 v11, vcc_lo, 0, v9, vcc_lo
	s_cbranch_execz .LBB14_64
	s_branch .LBB14_65
.LBB14_63:
                                        ; implicit-def: $vgpr10_vgpr11
.LBB14_64:
	v_mad_u64_u32 v[10:11], null, v17, s22, 0
	s_delay_alu instid0(VALU_DEP_1) | instskip(NEXT) | instid1(VALU_DEP_1)
	v_mad_u64_u32 v[24:25], null, v17, s23, v[11:12]
	v_mov_b32_e32 v11, v24
	s_delay_alu instid0(VALU_DEP_1) | instskip(NEXT) | instid1(VALU_DEP_1)
	v_lshlrev_b64 v[10:11], 1, v[10:11]
	v_add_co_u32 v10, vcc_lo, v14, v10
	s_delay_alu instid0(VALU_DEP_2) | instskip(NEXT) | instid1(VALU_DEP_2)
	v_add_co_ci_u32_e32 v11, vcc_lo, v15, v11, vcc_lo
	v_add_co_u32 v10, vcc_lo, 0x80, v10
	s_delay_alu instid0(VALU_DEP_2)
	v_add_co_ci_u32_e32 v11, vcc_lo, 0, v11, vcc_lo
.LBB14_65:
	global_load_u16 v10, v[10:11], off
	s_waitcnt vmcnt(0)
	v_cmp_neq_f16_e32 vcc_lo, 0, v10
	v_cndmask_b32_e64 v10, 0, 1, vcc_lo
	s_delay_alu instid0(VALU_DEP_1)
	v_add_co_u32 v2, vcc_lo, v2, v10
	v_add_co_ci_u32_e32 v3, vcc_lo, 0, v3, vcc_lo
.LBB14_66:
	s_or_b32 exec_lo, exec_lo, s3
	v_or_b32_e32 v17, 2, v16
	s_mov_b32 s3, exec_lo
	s_delay_alu instid0(VALU_DEP_1)
	v_cmpx_gt_i32_e64 s18, v17
	s_cbranch_execz .LBB14_72
; %bb.67:
	s_and_not1_b32 vcc_lo, exec_lo, s0
	s_cbranch_vccnz .LBB14_69
; %bb.68:
	v_add_co_u32 v10, vcc_lo, v8, 4
	v_add_co_ci_u32_e32 v11, vcc_lo, 0, v9, vcc_lo
	s_cbranch_execz .LBB14_70
	s_branch .LBB14_71
.LBB14_69:
                                        ; implicit-def: $vgpr10_vgpr11
.LBB14_70:
	v_mad_u64_u32 v[10:11], null, v17, s22, 0
	s_delay_alu instid0(VALU_DEP_1) | instskip(NEXT) | instid1(VALU_DEP_1)
	v_mad_u64_u32 v[24:25], null, v17, s23, v[11:12]
	v_mov_b32_e32 v11, v24
	s_delay_alu instid0(VALU_DEP_1) | instskip(NEXT) | instid1(VALU_DEP_1)
	v_lshlrev_b64 v[10:11], 1, v[10:11]
	v_add_co_u32 v10, vcc_lo, v14, v10
	s_delay_alu instid0(VALU_DEP_2) | instskip(NEXT) | instid1(VALU_DEP_2)
	v_add_co_ci_u32_e32 v11, vcc_lo, v15, v11, vcc_lo
	v_add_co_u32 v10, vcc_lo, 0x80, v10
	s_delay_alu instid0(VALU_DEP_2)
	v_add_co_ci_u32_e32 v11, vcc_lo, 0, v11, vcc_lo
.LBB14_71:
	global_load_u16 v10, v[10:11], off
	s_waitcnt vmcnt(0)
	v_cmp_neq_f16_e32 vcc_lo, 0, v10
	v_cndmask_b32_e64 v10, 0, 1, vcc_lo
	s_delay_alu instid0(VALU_DEP_1)
	v_add_co_u32 v2, vcc_lo, v2, v10
	v_add_co_ci_u32_e32 v3, vcc_lo, 0, v3, vcc_lo
.LBB14_72:
	s_or_b32 exec_lo, exec_lo, s3
	v_or_b32_e32 v10, 3, v16
	s_mov_b32 s3, exec_lo
	s_delay_alu instid0(VALU_DEP_1)
	v_cmpx_gt_i32_e64 s18, v10
	s_cbranch_execz .LBB14_78
; %bb.73:
	s_and_not1_b32 vcc_lo, exec_lo, s0
	s_cbranch_vccnz .LBB14_75
; %bb.74:
	v_add_co_u32 v8, vcc_lo, v8, 6
	v_add_co_ci_u32_e32 v9, vcc_lo, 0, v9, vcc_lo
	s_cbranch_execz .LBB14_76
	s_branch .LBB14_77
.LBB14_75:
                                        ; implicit-def: $vgpr8_vgpr9
.LBB14_76:
	v_mad_u64_u32 v[8:9], null, v10, s22, 0
	s_delay_alu instid0(VALU_DEP_1) | instskip(NEXT) | instid1(VALU_DEP_1)
	v_mad_u64_u32 v[24:25], null, v10, s23, v[9:10]
	v_mov_b32_e32 v9, v24
	s_delay_alu instid0(VALU_DEP_1) | instskip(NEXT) | instid1(VALU_DEP_1)
	v_lshlrev_b64 v[8:9], 1, v[8:9]
	v_add_co_u32 v8, vcc_lo, v14, v8
	s_delay_alu instid0(VALU_DEP_2) | instskip(NEXT) | instid1(VALU_DEP_2)
	v_add_co_ci_u32_e32 v9, vcc_lo, v15, v9, vcc_lo
	v_add_co_u32 v8, vcc_lo, 0x80, v8
	s_delay_alu instid0(VALU_DEP_2)
	v_add_co_ci_u32_e32 v9, vcc_lo, 0, v9, vcc_lo
.LBB14_77:
	global_load_u16 v8, v[8:9], off
	s_waitcnt vmcnt(0)
	v_cmp_neq_f16_e32 vcc_lo, 0, v8
	v_cndmask_b32_e64 v8, 0, 1, vcc_lo
	s_delay_alu instid0(VALU_DEP_1)
	v_add_co_u32 v2, vcc_lo, v2, v8
	v_add_co_ci_u32_e32 v3, vcc_lo, 0, v3, vcc_lo
.LBB14_78:
	s_or_b32 exec_lo, exec_lo, s3
	s_delay_alu instid0(SALU_CYCLE_1) | instskip(NEXT) | instid1(SALU_CYCLE_1)
	s_or_b32 exec_lo, exec_lo, s2
	s_mov_b32 s2, exec_lo
	v_cmpx_gt_i32_e64 s17, v23
	s_cbranch_execz .LBB14_32
.LBB14_79:
	v_ashrrev_i32_e32 v10, 31, v23
	v_mul_lo_u32 v11, v23, s23
	v_mad_u64_u32 v[8:9], null, v23, s22, 0
	s_mov_b32 s3, exec_lo
	s_delay_alu instid0(VALU_DEP_3) | instskip(NEXT) | instid1(VALU_DEP_1)
	v_mul_lo_u32 v10, v10, s22
	v_add3_u32 v9, v9, v11, v10
	v_lshlrev_b64 v[10:11], 1, v[18:19]
	s_delay_alu instid0(VALU_DEP_2) | instskip(NEXT) | instid1(VALU_DEP_2)
	v_lshlrev_b64 v[8:9], 1, v[8:9]
	v_add_co_u32 v14, vcc_lo, s20, v10
	s_delay_alu instid0(VALU_DEP_3) | instskip(NEXT) | instid1(VALU_DEP_3)
	v_add_co_ci_u32_e32 v15, vcc_lo, s21, v11, vcc_lo
	v_add_co_u32 v8, vcc_lo, v12, v8
	s_delay_alu instid0(VALU_DEP_4)
	v_add_co_ci_u32_e32 v9, vcc_lo, v13, v9, vcc_lo
	v_cmpx_gt_i32_e64 s18, v16
	s_cbranch_execz .LBB14_83
; %bb.80:
	s_delay_alu instid0(VALU_DEP_2)
	v_dual_mov_b32 v11, v9 :: v_dual_mov_b32 v10, v8
	s_and_not1_b32 vcc_lo, exec_lo, s1
	s_cbranch_vccnz .LBB14_82
; %bb.81:
	v_mad_u64_u32 v[10:11], null, v16, s22, 0
	s_delay_alu instid0(VALU_DEP_1) | instskip(NEXT) | instid1(VALU_DEP_1)
	v_mad_u64_u32 v[23:24], null, v16, s23, v[11:12]
	v_mov_b32_e32 v11, v23
	s_delay_alu instid0(VALU_DEP_1) | instskip(NEXT) | instid1(VALU_DEP_1)
	v_lshlrev_b64 v[10:11], 1, v[10:11]
	v_add_co_u32 v10, vcc_lo, v14, v10
	s_delay_alu instid0(VALU_DEP_2) | instskip(NEXT) | instid1(VALU_DEP_2)
	v_add_co_ci_u32_e32 v11, vcc_lo, v15, v11, vcc_lo
	v_add_co_u32 v10, vcc_lo, 0x100, v10
	s_delay_alu instid0(VALU_DEP_2)
	v_add_co_ci_u32_e32 v11, vcc_lo, 0, v11, vcc_lo
.LBB14_82:
	global_load_u16 v10, v[10:11], off
	s_waitcnt vmcnt(0)
	v_cmp_neq_f16_e32 vcc_lo, 0, v10
	v_cndmask_b32_e64 v10, 0, 1, vcc_lo
	s_delay_alu instid0(VALU_DEP_1)
	v_add_co_u32 v4, vcc_lo, v4, v10
	v_add_co_ci_u32_e32 v5, vcc_lo, 0, v5, vcc_lo
.LBB14_83:
	s_or_b32 exec_lo, exec_lo, s3
	v_or_b32_e32 v17, 1, v16
	s_mov_b32 s3, exec_lo
	s_delay_alu instid0(VALU_DEP_1)
	v_cmpx_gt_i32_e64 s18, v17
	s_cbranch_execz .LBB14_89
; %bb.84:
	s_and_not1_b32 vcc_lo, exec_lo, s0
	s_cbranch_vccnz .LBB14_86
; %bb.85:
	v_add_co_u32 v10, vcc_lo, v8, 2
	v_add_co_ci_u32_e32 v11, vcc_lo, 0, v9, vcc_lo
	s_cbranch_execz .LBB14_87
	s_branch .LBB14_88
.LBB14_86:
                                        ; implicit-def: $vgpr10_vgpr11
.LBB14_87:
	v_mad_u64_u32 v[10:11], null, v17, s22, 0
	s_delay_alu instid0(VALU_DEP_1) | instskip(NEXT) | instid1(VALU_DEP_1)
	v_mad_u64_u32 v[23:24], null, v17, s23, v[11:12]
	v_mov_b32_e32 v11, v23
	s_delay_alu instid0(VALU_DEP_1) | instskip(NEXT) | instid1(VALU_DEP_1)
	v_lshlrev_b64 v[10:11], 1, v[10:11]
	v_add_co_u32 v10, vcc_lo, v14, v10
	s_delay_alu instid0(VALU_DEP_2) | instskip(NEXT) | instid1(VALU_DEP_2)
	v_add_co_ci_u32_e32 v11, vcc_lo, v15, v11, vcc_lo
	v_add_co_u32 v10, vcc_lo, 0x100, v10
	s_delay_alu instid0(VALU_DEP_2)
	v_add_co_ci_u32_e32 v11, vcc_lo, 0, v11, vcc_lo
.LBB14_88:
	global_load_u16 v10, v[10:11], off
	s_waitcnt vmcnt(0)
	v_cmp_neq_f16_e32 vcc_lo, 0, v10
	v_cndmask_b32_e64 v10, 0, 1, vcc_lo
	s_delay_alu instid0(VALU_DEP_1)
	v_add_co_u32 v4, vcc_lo, v4, v10
	v_add_co_ci_u32_e32 v5, vcc_lo, 0, v5, vcc_lo
.LBB14_89:
	s_or_b32 exec_lo, exec_lo, s3
	v_or_b32_e32 v17, 2, v16
	s_mov_b32 s3, exec_lo
	s_delay_alu instid0(VALU_DEP_1)
	v_cmpx_gt_i32_e64 s18, v17
	s_cbranch_execz .LBB14_95
; %bb.90:
	s_and_not1_b32 vcc_lo, exec_lo, s0
	s_cbranch_vccnz .LBB14_92
; %bb.91:
	v_add_co_u32 v10, vcc_lo, v8, 4
	v_add_co_ci_u32_e32 v11, vcc_lo, 0, v9, vcc_lo
	s_cbranch_execz .LBB14_93
	s_branch .LBB14_94
.LBB14_92:
                                        ; implicit-def: $vgpr10_vgpr11
.LBB14_93:
	v_mad_u64_u32 v[10:11], null, v17, s22, 0
	s_delay_alu instid0(VALU_DEP_1) | instskip(NEXT) | instid1(VALU_DEP_1)
	v_mad_u64_u32 v[23:24], null, v17, s23, v[11:12]
	v_mov_b32_e32 v11, v23
	s_delay_alu instid0(VALU_DEP_1) | instskip(NEXT) | instid1(VALU_DEP_1)
	v_lshlrev_b64 v[10:11], 1, v[10:11]
	v_add_co_u32 v10, vcc_lo, v14, v10
	s_delay_alu instid0(VALU_DEP_2) | instskip(NEXT) | instid1(VALU_DEP_2)
	v_add_co_ci_u32_e32 v11, vcc_lo, v15, v11, vcc_lo
	v_add_co_u32 v10, vcc_lo, 0x100, v10
	s_delay_alu instid0(VALU_DEP_2)
	v_add_co_ci_u32_e32 v11, vcc_lo, 0, v11, vcc_lo
.LBB14_94:
	global_load_u16 v10, v[10:11], off
	s_waitcnt vmcnt(0)
	v_cmp_neq_f16_e32 vcc_lo, 0, v10
	v_cndmask_b32_e64 v10, 0, 1, vcc_lo
	s_delay_alu instid0(VALU_DEP_1)
	v_add_co_u32 v4, vcc_lo, v4, v10
	v_add_co_ci_u32_e32 v5, vcc_lo, 0, v5, vcc_lo
.LBB14_95:
	s_or_b32 exec_lo, exec_lo, s3
	v_or_b32_e32 v10, 3, v16
	s_mov_b32 s3, exec_lo
	s_delay_alu instid0(VALU_DEP_1)
	v_cmpx_gt_i32_e64 s18, v10
	s_cbranch_execz .LBB14_101
; %bb.96:
	s_and_not1_b32 vcc_lo, exec_lo, s0
	s_cbranch_vccnz .LBB14_98
; %bb.97:
	v_add_co_u32 v8, vcc_lo, v8, 6
	v_add_co_ci_u32_e32 v9, vcc_lo, 0, v9, vcc_lo
	s_cbranch_execz .LBB14_99
	s_branch .LBB14_100
.LBB14_98:
                                        ; implicit-def: $vgpr8_vgpr9
.LBB14_99:
	v_mad_u64_u32 v[8:9], null, v10, s22, 0
	s_delay_alu instid0(VALU_DEP_1) | instskip(NEXT) | instid1(VALU_DEP_1)
	v_mad_u64_u32 v[23:24], null, v10, s23, v[9:10]
	v_mov_b32_e32 v9, v23
	s_delay_alu instid0(VALU_DEP_1) | instskip(NEXT) | instid1(VALU_DEP_1)
	v_lshlrev_b64 v[8:9], 1, v[8:9]
	v_add_co_u32 v8, vcc_lo, v14, v8
	s_delay_alu instid0(VALU_DEP_2) | instskip(NEXT) | instid1(VALU_DEP_2)
	v_add_co_ci_u32_e32 v9, vcc_lo, v15, v9, vcc_lo
	v_add_co_u32 v8, vcc_lo, 0x100, v8
	s_delay_alu instid0(VALU_DEP_2)
	v_add_co_ci_u32_e32 v9, vcc_lo, 0, v9, vcc_lo
.LBB14_100:
	global_load_u16 v8, v[8:9], off
	s_waitcnt vmcnt(0)
	v_cmp_neq_f16_e32 vcc_lo, 0, v8
	v_cndmask_b32_e64 v8, 0, 1, vcc_lo
	s_delay_alu instid0(VALU_DEP_1)
	v_add_co_u32 v4, vcc_lo, v4, v8
	v_add_co_ci_u32_e32 v5, vcc_lo, 0, v5, vcc_lo
.LBB14_101:
	s_or_b32 exec_lo, exec_lo, s3
	s_delay_alu instid0(SALU_CYCLE_1) | instskip(NEXT) | instid1(SALU_CYCLE_1)
	s_or_b32 exec_lo, exec_lo, s2
	s_mov_b32 s2, exec_lo
	v_cmpx_gt_i32_e64 s17, v22
	s_cbranch_execz .LBB14_125
.LBB14_102:
	v_ashrrev_i32_e32 v10, 31, v22
	v_mul_lo_u32 v11, v22, s23
	v_mad_u64_u32 v[8:9], null, v22, s22, 0
	s_mov_b32 s3, exec_lo
	s_delay_alu instid0(VALU_DEP_3) | instskip(NEXT) | instid1(VALU_DEP_1)
	v_mul_lo_u32 v10, v10, s22
	v_add3_u32 v9, v9, v11, v10
	v_lshlrev_b64 v[10:11], 1, v[18:19]
	s_delay_alu instid0(VALU_DEP_2) | instskip(NEXT) | instid1(VALU_DEP_2)
	v_lshlrev_b64 v[8:9], 1, v[8:9]
	v_add_co_u32 v14, vcc_lo, s20, v10
	s_delay_alu instid0(VALU_DEP_3) | instskip(NEXT) | instid1(VALU_DEP_3)
	v_add_co_ci_u32_e32 v15, vcc_lo, s21, v11, vcc_lo
	v_add_co_u32 v8, vcc_lo, v12, v8
	s_delay_alu instid0(VALU_DEP_4)
	v_add_co_ci_u32_e32 v9, vcc_lo, v13, v9, vcc_lo
	v_cmpx_gt_i32_e64 s18, v16
	s_cbranch_execz .LBB14_106
; %bb.103:
	s_delay_alu instid0(VALU_DEP_2)
	v_dual_mov_b32 v11, v9 :: v_dual_mov_b32 v10, v8
	s_and_not1_b32 vcc_lo, exec_lo, s1
	s_cbranch_vccnz .LBB14_105
; %bb.104:
	v_mad_u64_u32 v[10:11], null, v16, s22, 0
	s_delay_alu instid0(VALU_DEP_1) | instskip(NEXT) | instid1(VALU_DEP_1)
	v_mad_u64_u32 v[12:13], null, v16, s23, v[11:12]
	v_mov_b32_e32 v11, v12
	s_delay_alu instid0(VALU_DEP_1) | instskip(NEXT) | instid1(VALU_DEP_1)
	v_lshlrev_b64 v[10:11], 1, v[10:11]
	v_add_co_u32 v10, vcc_lo, v14, v10
	s_delay_alu instid0(VALU_DEP_2) | instskip(NEXT) | instid1(VALU_DEP_2)
	v_add_co_ci_u32_e32 v11, vcc_lo, v15, v11, vcc_lo
	v_add_co_u32 v10, vcc_lo, 0x180, v10
	s_delay_alu instid0(VALU_DEP_2)
	v_add_co_ci_u32_e32 v11, vcc_lo, 0, v11, vcc_lo
.LBB14_105:
	global_load_u16 v10, v[10:11], off
	s_waitcnt vmcnt(0)
	v_cmp_neq_f16_e32 vcc_lo, 0, v10
	v_cndmask_b32_e64 v10, 0, 1, vcc_lo
	s_delay_alu instid0(VALU_DEP_1)
	v_add_co_u32 v6, vcc_lo, v6, v10
	v_add_co_ci_u32_e32 v7, vcc_lo, 0, v7, vcc_lo
.LBB14_106:
	s_or_b32 exec_lo, exec_lo, s3
	v_or_b32_e32 v13, 1, v16
	v_cndmask_b32_e64 v12, 0, 1, s0
	s_mov_b32 s1, exec_lo
	s_delay_alu instid0(VALU_DEP_2)
	v_cmpx_gt_i32_e64 s18, v13
	s_cbranch_execz .LBB14_112
; %bb.107:
	s_and_not1_b32 vcc_lo, exec_lo, s0
	s_cbranch_vccnz .LBB14_109
; %bb.108:
	v_add_co_u32 v10, vcc_lo, v8, 2
	v_add_co_ci_u32_e32 v11, vcc_lo, 0, v9, vcc_lo
	s_cbranch_execz .LBB14_110
	s_branch .LBB14_111
.LBB14_109:
                                        ; implicit-def: $vgpr10_vgpr11
.LBB14_110:
	v_mad_u64_u32 v[10:11], null, v13, s22, 0
	s_delay_alu instid0(VALU_DEP_1) | instskip(NEXT) | instid1(VALU_DEP_1)
	v_mad_u64_u32 v[17:18], null, v13, s23, v[11:12]
	v_mov_b32_e32 v11, v17
	s_delay_alu instid0(VALU_DEP_1) | instskip(NEXT) | instid1(VALU_DEP_1)
	v_lshlrev_b64 v[10:11], 1, v[10:11]
	v_add_co_u32 v10, vcc_lo, v14, v10
	s_delay_alu instid0(VALU_DEP_2) | instskip(NEXT) | instid1(VALU_DEP_2)
	v_add_co_ci_u32_e32 v11, vcc_lo, v15, v11, vcc_lo
	v_add_co_u32 v10, vcc_lo, 0x180, v10
	s_delay_alu instid0(VALU_DEP_2)
	v_add_co_ci_u32_e32 v11, vcc_lo, 0, v11, vcc_lo
.LBB14_111:
	global_load_u16 v10, v[10:11], off
	s_waitcnt vmcnt(0)
	v_cmp_neq_f16_e32 vcc_lo, 0, v10
	v_cndmask_b32_e64 v10, 0, 1, vcc_lo
	s_delay_alu instid0(VALU_DEP_1)
	v_add_co_u32 v6, vcc_lo, v6, v10
	v_add_co_ci_u32_e32 v7, vcc_lo, 0, v7, vcc_lo
.LBB14_112:
	s_or_b32 exec_lo, exec_lo, s1
	v_or_b32_e32 v13, 2, v16
	s_mov_b32 s0, exec_lo
	s_delay_alu instid0(VALU_DEP_1)
	v_cmpx_gt_i32_e64 s18, v13
	s_cbranch_execz .LBB14_118
; %bb.113:
	v_cmp_ne_u32_e32 vcc_lo, 1, v12
	s_cbranch_vccnz .LBB14_115
; %bb.114:
	v_add_co_u32 v10, vcc_lo, v8, 4
	v_add_co_ci_u32_e32 v11, vcc_lo, 0, v9, vcc_lo
	s_cbranch_execz .LBB14_116
	s_branch .LBB14_117
.LBB14_115:
                                        ; implicit-def: $vgpr10_vgpr11
.LBB14_116:
	v_mad_u64_u32 v[10:11], null, v13, s22, 0
	s_delay_alu instid0(VALU_DEP_1) | instskip(NEXT) | instid1(VALU_DEP_1)
	v_mad_u64_u32 v[17:18], null, v13, s23, v[11:12]
	v_mov_b32_e32 v11, v17
	s_delay_alu instid0(VALU_DEP_1) | instskip(NEXT) | instid1(VALU_DEP_1)
	v_lshlrev_b64 v[10:11], 1, v[10:11]
	v_add_co_u32 v10, vcc_lo, v14, v10
	s_delay_alu instid0(VALU_DEP_2) | instskip(NEXT) | instid1(VALU_DEP_2)
	v_add_co_ci_u32_e32 v11, vcc_lo, v15, v11, vcc_lo
	v_add_co_u32 v10, vcc_lo, 0x180, v10
	s_delay_alu instid0(VALU_DEP_2)
	v_add_co_ci_u32_e32 v11, vcc_lo, 0, v11, vcc_lo
.LBB14_117:
	global_load_u16 v10, v[10:11], off
	s_waitcnt vmcnt(0)
	v_cmp_neq_f16_e32 vcc_lo, 0, v10
	v_cndmask_b32_e64 v10, 0, 1, vcc_lo
	s_delay_alu instid0(VALU_DEP_1)
	v_add_co_u32 v6, vcc_lo, v6, v10
	v_add_co_ci_u32_e32 v7, vcc_lo, 0, v7, vcc_lo
.LBB14_118:
	s_or_b32 exec_lo, exec_lo, s0
	v_or_b32_e32 v10, 3, v16
	s_mov_b32 s0, exec_lo
	s_delay_alu instid0(VALU_DEP_1)
	v_cmpx_gt_i32_e64 s18, v10
	s_cbranch_execz .LBB14_124
; %bb.119:
	v_cmp_ne_u32_e32 vcc_lo, 1, v12
	s_cbranch_vccnz .LBB14_121
; %bb.120:
	v_add_co_u32 v8, vcc_lo, v8, 6
	v_add_co_ci_u32_e32 v9, vcc_lo, 0, v9, vcc_lo
	s_cbranch_execz .LBB14_122
	s_branch .LBB14_123
.LBB14_121:
                                        ; implicit-def: $vgpr8_vgpr9
.LBB14_122:
	v_mad_u64_u32 v[8:9], null, v10, s22, 0
	s_delay_alu instid0(VALU_DEP_1) | instskip(NEXT) | instid1(VALU_DEP_1)
	v_mad_u64_u32 v[11:12], null, v10, s23, v[9:10]
	v_mov_b32_e32 v9, v11
	s_delay_alu instid0(VALU_DEP_1) | instskip(NEXT) | instid1(VALU_DEP_1)
	v_lshlrev_b64 v[8:9], 1, v[8:9]
	v_add_co_u32 v8, vcc_lo, v14, v8
	s_delay_alu instid0(VALU_DEP_2) | instskip(NEXT) | instid1(VALU_DEP_2)
	v_add_co_ci_u32_e32 v9, vcc_lo, v15, v9, vcc_lo
	v_add_co_u32 v8, vcc_lo, 0x180, v8
	s_delay_alu instid0(VALU_DEP_2)
	v_add_co_ci_u32_e32 v9, vcc_lo, 0, v9, vcc_lo
.LBB14_123:
	global_load_u16 v8, v[8:9], off
	s_waitcnt vmcnt(0)
	v_cmp_neq_f16_e32 vcc_lo, 0, v8
	v_cndmask_b32_e64 v8, 0, 1, vcc_lo
	s_delay_alu instid0(VALU_DEP_1)
	v_add_co_u32 v6, vcc_lo, v6, v8
	v_add_co_ci_u32_e32 v7, vcc_lo, 0, v7, vcc_lo
.LBB14_124:
	s_or_b32 exec_lo, exec_lo, s0
.LBB14_125:
	s_delay_alu instid0(SALU_CYCLE_1)
	s_or_b32 exec_lo, exec_lo, s2
.LBB14_126:
	v_lshlrev_b32_e32 v8, 2, v20
	s_mov_b32 s0, exec_lo
	s_delay_alu instid0(VALU_DEP_1) | instskip(NEXT) | instid1(VALU_DEP_1)
	v_and_or_b32 v8, 0x1fffff00, v8, v21
	v_lshlrev_b32_e32 v8, 3, v8
	ds_store_2addr_stride64_b64 v8, v[0:1], v[2:3] offset1:1
	ds_store_2addr_stride64_b64 v8, v[4:5], v[6:7] offset0:2 offset1:3
	s_waitcnt lgkmcnt(0)
	s_barrier
	buffer_gl0_inv
	v_cmpx_gt_u32_e32 0x100, v20
	s_cbranch_execz .LBB14_129
; %bb.127:
	v_lshlrev_b32_e32 v12, 3, v20
	ds_load_2addr_stride64_b64 v[0:3], v12 offset1:4
	ds_load_2addr_stride64_b64 v[4:7], v12 offset0:8 offset1:12
	ds_load_2addr_stride64_b64 v[8:11], v12 offset0:16 offset1:20
	s_waitcnt lgkmcnt(2)
	v_add_co_u32 v13, vcc_lo, v0, v2
	v_add_co_ci_u32_e32 v14, vcc_lo, v1, v3, vcc_lo
	ds_load_2addr_stride64_b64 v[0:3], v12 offset0:24 offset1:28
	s_waitcnt lgkmcnt(2)
	v_add_co_u32 v4, vcc_lo, v13, v4
	v_add_co_ci_u32_e32 v5, vcc_lo, v14, v5, vcc_lo
	s_delay_alu instid0(VALU_DEP_2) | instskip(NEXT) | instid1(VALU_DEP_2)
	v_add_co_u32 v13, vcc_lo, v4, v6
	v_add_co_ci_u32_e32 v14, vcc_lo, v5, v7, vcc_lo
	ds_load_2addr_stride64_b64 v[4:7], v12 offset0:32 offset1:36
	s_waitcnt lgkmcnt(2)
	v_add_co_u32 v8, vcc_lo, v13, v8
	v_add_co_ci_u32_e32 v9, vcc_lo, v14, v9, vcc_lo
	s_delay_alu instid0(VALU_DEP_2) | instskip(NEXT) | instid1(VALU_DEP_2)
	;; [unrolled: 7-line block ×5, first 2 shown]
	v_add_co_u32 v8, vcc_lo, v8, v10
	v_add_co_ci_u32_e32 v9, vcc_lo, v9, v11, vcc_lo
	s_waitcnt lgkmcnt(1)
	s_delay_alu instid0(VALU_DEP_2) | instskip(NEXT) | instid1(VALU_DEP_2)
	v_add_co_u32 v0, vcc_lo, v8, v0
	v_add_co_ci_u32_e32 v1, vcc_lo, v9, v1, vcc_lo
	s_delay_alu instid0(VALU_DEP_2) | instskip(NEXT) | instid1(VALU_DEP_2)
	v_add_co_u32 v0, vcc_lo, v0, v2
	v_add_co_ci_u32_e32 v1, vcc_lo, v1, v3, vcc_lo
	v_add_nc_u32_e32 v2, s5, v20
	s_waitcnt lgkmcnt(0)
	s_delay_alu instid0(VALU_DEP_3) | instskip(NEXT) | instid1(VALU_DEP_3)
	v_add_co_u32 v0, vcc_lo, v0, v4
	v_add_co_ci_u32_e32 v1, vcc_lo, v1, v5, vcc_lo
	s_delay_alu instid0(VALU_DEP_2) | instskip(NEXT) | instid1(VALU_DEP_2)
	v_add_co_u32 v0, vcc_lo, v0, v6
	v_add_co_ci_u32_e32 v1, vcc_lo, v1, v7, vcc_lo
	v_cmp_gt_i32_e32 vcc_lo, s17, v2
	ds_store_b64 v12, v[0:1]
	s_and_b32 exec_lo, exec_lo, vcc_lo
	s_cbranch_execz .LBB14_129
; %bb.128:
	v_ashrrev_i32_e32 v3, 31, v2
	s_delay_alu instid0(VALU_DEP_1) | instskip(NEXT) | instid1(VALU_DEP_1)
	v_lshlrev_b64 v[2:3], 3, v[2:3]
	v_add_co_u32 v2, vcc_lo, s6, v2
	s_delay_alu instid0(VALU_DEP_2)
	v_add_co_ci_u32_e32 v3, vcc_lo, s7, v3, vcc_lo
	global_store_b64 v[2:3], v[0:1], off
.LBB14_129:
	s_nop 0
	s_sendmsg sendmsg(MSG_DEALLOC_VGPRS)
	s_endpgm
	.section	.rodata,"a",@progbits
	.p2align	6, 0x0
	.amdhsa_kernel _ZN9rocsparseL14nnz_kernel_rowILi64ELi16EliDF16_EEv16rocsparse_order_T2_S2_PKT3_lPT1_
		.amdhsa_group_segment_fixed_size 32768
		.amdhsa_private_segment_fixed_size 0
		.amdhsa_kernarg_size 296
		.amdhsa_user_sgpr_count 15
		.amdhsa_user_sgpr_dispatch_ptr 0
		.amdhsa_user_sgpr_queue_ptr 0
		.amdhsa_user_sgpr_kernarg_segment_ptr 1
		.amdhsa_user_sgpr_dispatch_id 0
		.amdhsa_user_sgpr_private_segment_size 0
		.amdhsa_wavefront_size32 1
		.amdhsa_uses_dynamic_stack 0
		.amdhsa_enable_private_segment 0
		.amdhsa_system_sgpr_workgroup_id_x 1
		.amdhsa_system_sgpr_workgroup_id_y 0
		.amdhsa_system_sgpr_workgroup_id_z 0
		.amdhsa_system_sgpr_workgroup_info 0
		.amdhsa_system_vgpr_workitem_id 1
		.amdhsa_next_free_vgpr 41
		.amdhsa_next_free_sgpr 25
		.amdhsa_reserve_vcc 1
		.amdhsa_float_round_mode_32 0
		.amdhsa_float_round_mode_16_64 0
		.amdhsa_float_denorm_mode_32 3
		.amdhsa_float_denorm_mode_16_64 3
		.amdhsa_dx10_clamp 1
		.amdhsa_ieee_mode 1
		.amdhsa_fp16_overflow 0
		.amdhsa_workgroup_processor_mode 1
		.amdhsa_memory_ordered 1
		.amdhsa_forward_progress 0
		.amdhsa_shared_vgpr_count 0
		.amdhsa_exception_fp_ieee_invalid_op 0
		.amdhsa_exception_fp_denorm_src 0
		.amdhsa_exception_fp_ieee_div_zero 0
		.amdhsa_exception_fp_ieee_overflow 0
		.amdhsa_exception_fp_ieee_underflow 0
		.amdhsa_exception_fp_ieee_inexact 0
		.amdhsa_exception_int_div_zero 0
	.end_amdhsa_kernel
	.section	.text._ZN9rocsparseL14nnz_kernel_rowILi64ELi16EliDF16_EEv16rocsparse_order_T2_S2_PKT3_lPT1_,"axG",@progbits,_ZN9rocsparseL14nnz_kernel_rowILi64ELi16EliDF16_EEv16rocsparse_order_T2_S2_PKT3_lPT1_,comdat
.Lfunc_end14:
	.size	_ZN9rocsparseL14nnz_kernel_rowILi64ELi16EliDF16_EEv16rocsparse_order_T2_S2_PKT3_lPT1_, .Lfunc_end14-_ZN9rocsparseL14nnz_kernel_rowILi64ELi16EliDF16_EEv16rocsparse_order_T2_S2_PKT3_lPT1_
                                        ; -- End function
	.section	.AMDGPU.csdata,"",@progbits
; Kernel info:
; codeLenInByte = 6564
; NumSgprs: 27
; NumVgprs: 41
; ScratchSize: 0
; MemoryBound: 0
; FloatMode: 240
; IeeeMode: 1
; LDSByteSize: 32768 bytes/workgroup (compile time only)
; SGPRBlocks: 3
; VGPRBlocks: 5
; NumSGPRsForWavesPerEU: 27
; NumVGPRsForWavesPerEU: 41
; Occupancy: 16
; WaveLimiterHint : 0
; COMPUTE_PGM_RSRC2:SCRATCH_EN: 0
; COMPUTE_PGM_RSRC2:USER_SGPR: 15
; COMPUTE_PGM_RSRC2:TRAP_HANDLER: 0
; COMPUTE_PGM_RSRC2:TGID_X_EN: 1
; COMPUTE_PGM_RSRC2:TGID_Y_EN: 0
; COMPUTE_PGM_RSRC2:TGID_Z_EN: 0
; COMPUTE_PGM_RSRC2:TIDIG_COMP_CNT: 1
	.section	.text._ZN9rocsparseL14nnz_kernel_colILi256EliDF16_EEv16rocsparse_order_T1_S2_PKT2_lPT0_,"axG",@progbits,_ZN9rocsparseL14nnz_kernel_colILi256EliDF16_EEv16rocsparse_order_T1_S2_PKT2_lPT0_,comdat
	.globl	_ZN9rocsparseL14nnz_kernel_colILi256EliDF16_EEv16rocsparse_order_T1_S2_PKT2_lPT0_ ; -- Begin function _ZN9rocsparseL14nnz_kernel_colILi256EliDF16_EEv16rocsparse_order_T1_S2_PKT2_lPT0_
	.p2align	8
	.type	_ZN9rocsparseL14nnz_kernel_colILi256EliDF16_EEv16rocsparse_order_T1_S2_PKT2_lPT0_,@function
_ZN9rocsparseL14nnz_kernel_colILi256EliDF16_EEv16rocsparse_order_T1_S2_PKT2_lPT0_: ; @_ZN9rocsparseL14nnz_kernel_colILi256EliDF16_EEv16rocsparse_order_T1_S2_PKT2_lPT0_
; %bb.0:
	s_clause 0x1
	s_load_b64 s[2:3], s[0:1], 0x0
	s_load_b128 s[4:7], s[0:1], 0x10
	s_mov_b32 s8, s15
	s_waitcnt lgkmcnt(0)
	s_ashr_i32 s9, s3, 31
	s_delay_alu instid0(SALU_CYCLE_1) | instskip(NEXT) | instid1(SALU_CYCLE_1)
	s_lshr_b32 s9, s9, 24
	s_add_i32 s9, s3, s9
	s_delay_alu instid0(SALU_CYCLE_1)
	s_and_b32 s10, s9, 0xffffff00
	s_cmp_eq_u32 s2, 1
	s_cbranch_scc1 .LBB15_6
; %bb.1:
	v_mov_b32_e32 v1, 0
	v_mov_b32_e32 v2, 0
	s_cmpk_lt_i32 s3, 0x100
	s_cbranch_scc1 .LBB15_7
; %bb.2:
	v_mad_u64_u32 v[1:2], null, s6, v0, 0
	s_ashr_i32 s9, s8, 31
	s_delay_alu instid0(SALU_CYCLE_1) | instskip(NEXT) | instid1(SALU_CYCLE_1)
	s_lshl_b64 s[12:13], s[8:9], 1
	s_add_u32 s2, s4, s12
	s_addc_u32 s9, s5, s13
	s_delay_alu instid0(VALU_DEP_1) | instskip(SKIP_1) | instid1(VALU_DEP_1)
	v_mad_u64_u32 v[3:4], null, s7, v0, v[2:3]
	s_lshl_b64 s[12:13], s[6:7], 9
	v_mov_b32_e32 v2, v3
	s_delay_alu instid0(VALU_DEP_1) | instskip(SKIP_2) | instid1(VALU_DEP_3)
	v_lshlrev_b64 v[3:4], 1, v[1:2]
	v_mov_b32_e32 v1, 0
	v_mov_b32_e32 v2, 0
	v_add_co_u32 v3, vcc_lo, s2, v3
	s_delay_alu instid0(VALU_DEP_4)
	v_add_co_ci_u32_e32 v4, vcc_lo, s9, v4, vcc_lo
	s_mov_b32 s2, 0
	s_branch .LBB15_4
	.p2align	6
.LBB15_3:                               ;   in Loop: Header=BB15_4 Depth=1
	s_or_b32 exec_lo, exec_lo, s9
	v_add_co_u32 v3, vcc_lo, v3, s12
	v_add_co_ci_u32_e32 v4, vcc_lo, s13, v4, vcc_lo
	s_addk_i32 s2, 0x100
	s_delay_alu instid0(SALU_CYCLE_1)
	s_cmp_ge_i32 s2, s10
	s_cbranch_scc1 .LBB15_7
.LBB15_4:                               ; =>This Inner Loop Header: Depth=1
	v_add_nc_u32_e32 v5, s2, v0
	s_mov_b32 s9, exec_lo
	s_delay_alu instid0(VALU_DEP_1)
	v_cmpx_gt_i32_e64 s3, v5
	s_cbranch_execz .LBB15_3
; %bb.5:                                ;   in Loop: Header=BB15_4 Depth=1
	global_load_u16 v5, v[3:4], off
	s_waitcnt vmcnt(0)
	v_cmp_neq_f16_e32 vcc_lo, 0, v5
	v_cndmask_b32_e64 v5, 0, 1, vcc_lo
	s_delay_alu instid0(VALU_DEP_1)
	v_add_co_u32 v1, vcc_lo, v1, v5
	v_add_co_ci_u32_e32 v2, vcc_lo, 0, v2, vcc_lo
	s_branch .LBB15_3
.LBB15_6:
	s_mov_b32 s12, 0
                                        ; implicit-def: $vgpr1_vgpr2
                                        ; implicit-def: $vgpr3_vgpr4
	s_cbranch_execnz .LBB15_10
	s_branch .LBB15_16
.LBB15_7:
	v_add_nc_u32_e32 v5, s10, v0
	s_mov_b32 s2, 0
	s_mov_b32 s12, 0
                                        ; implicit-def: $vgpr3_vgpr4
	s_mov_b32 s9, exec_lo
	s_delay_alu instid0(VALU_DEP_1)
	v_cmpx_gt_i32_e64 s3, v5
	s_xor_b32 s11, exec_lo, s9
	s_cbranch_execz .LBB15_9
; %bb.8:
	v_ashrrev_i32_e32 v6, 31, v5
	v_mul_lo_u32 v7, v5, s7
	v_mad_u64_u32 v[3:4], null, v5, s6, 0
	s_ashr_i32 s9, s8, 31
	s_delay_alu instid0(VALU_DEP_3) | instskip(SKIP_4) | instid1(VALU_DEP_1)
	v_mul_lo_u32 v5, v6, s6
	s_lshl_b64 s[14:15], s[8:9], 1
	s_mov_b32 s12, exec_lo
	s_add_u32 s9, s14, s4
	s_addc_u32 s13, s15, s5
	v_add3_u32 v4, v4, v7, v5
	s_delay_alu instid0(VALU_DEP_1) | instskip(NEXT) | instid1(VALU_DEP_1)
	v_lshlrev_b64 v[3:4], 1, v[3:4]
	v_add_co_u32 v3, vcc_lo, s9, v3
	s_delay_alu instid0(VALU_DEP_2)
	v_add_co_ci_u32_e32 v4, vcc_lo, s13, v4, vcc_lo
.LBB15_9:
	s_or_b32 exec_lo, exec_lo, s11
	s_delay_alu instid0(SALU_CYCLE_1)
	s_and_b32 vcc_lo, exec_lo, s2
	s_cbranch_vccz .LBB15_16
.LBB15_10:
	v_cmp_gt_i32_e32 vcc_lo, s3, v0
	s_mul_i32 s2, s8, s7
	s_mul_hi_u32 s7, s8, s6
	s_ashr_i32 s9, s8, 31
	s_add_i32 s2, s7, s2
	v_cndmask_b32_e32 v1, 0, v0, vcc_lo
	s_mul_i32 s9, s9, s6
	s_mul_i32 s6, s8, s6
	s_add_i32 s7, s2, s9
	s_delay_alu instid0(SALU_CYCLE_1)
	s_lshl_b64 s[6:7], s[6:7], 1
	v_lshlrev_b32_e32 v3, 1, v1
	s_add_u32 s2, s4, s6
	v_mov_b32_e32 v1, 0
	v_mov_b32_e32 v2, 0
	s_addc_u32 s4, s5, s7
	v_add_co_u32 v5, s2, s2, v3
	s_delay_alu instid0(VALU_DEP_1)
	v_add_co_ci_u32_e64 v6, null, s4, 0, s2
	s_cmpk_lt_i32 s3, 0x100
	s_mov_b32 s4, 0
	s_cbranch_scc1 .LBB15_13
; %bb.11:
	v_mov_b32_e32 v1, 0
	v_dual_mov_b32 v2, 0 :: v_dual_mov_b32 v3, v5
	v_mov_b32_e32 v4, v6
.LBB15_12:                              ; =>This Inner Loop Header: Depth=1
	global_load_u16 v7, v[3:4], off
	v_add_co_u32 v3, vcc_lo, 0x200, v3
	v_add_co_ci_u32_e32 v4, vcc_lo, 0, v4, vcc_lo
	s_addk_i32 s4, 0x100
	s_delay_alu instid0(SALU_CYCLE_1) | instskip(SKIP_2) | instid1(VALU_DEP_1)
	s_cmp_ge_i32 s4, s10
	s_waitcnt vmcnt(0)
	v_cmp_neq_f16_e64 s2, 0, v7
	v_cndmask_b32_e64 v7, 0, 1, s2
	s_delay_alu instid0(VALU_DEP_1)
	v_add_co_u32 v1, vcc_lo, v1, v7
	v_add_co_ci_u32_e32 v2, vcc_lo, 0, v2, vcc_lo
	s_cbranch_scc0 .LBB15_12
.LBB15_13:
	v_add_nc_u32_e32 v3, s10, v0
	s_delay_alu instid0(VALU_DEP_1)
	v_cmp_gt_i32_e32 vcc_lo, s3, v3
                                        ; implicit-def: $vgpr3_vgpr4
	s_and_saveexec_b32 s2, vcc_lo
; %bb.14:
	s_ashr_i32 s11, s10, 31
	s_or_b32 s12, s12, exec_lo
	s_lshl_b64 s[4:5], s[10:11], 1
	s_delay_alu instid0(SALU_CYCLE_1)
	v_add_co_u32 v3, vcc_lo, v5, s4
	v_add_co_ci_u32_e32 v4, vcc_lo, s5, v6, vcc_lo
; %bb.15:
	s_or_b32 exec_lo, exec_lo, s2
.LBB15_16:
	s_and_saveexec_b32 s2, s12
	s_cbranch_execz .LBB15_18
; %bb.17:
	global_load_u16 v3, v[3:4], off
	s_waitcnt vmcnt(0)
	v_cmp_neq_f16_e32 vcc_lo, 0, v3
	v_cndmask_b32_e64 v3, 0, 1, vcc_lo
	s_delay_alu instid0(VALU_DEP_1)
	v_add_co_u32 v1, vcc_lo, v1, v3
	v_add_co_ci_u32_e32 v2, vcc_lo, 0, v2, vcc_lo
.LBB15_18:
	s_or_b32 exec_lo, exec_lo, s2
	v_lshlrev_b32_e32 v3, 3, v0
	v_cmp_eq_u32_e32 vcc_lo, 0, v0
	s_cmpk_lt_i32 s3, 0x100
	s_mov_b32 s2, -1
	ds_store_b64 v3, v[1:2]
	s_waitcnt lgkmcnt(0)
	s_cbranch_scc0 .LBB15_29
; %bb.19:
	s_cmp_gt_i32 s3, 1
	s_mov_b32 s4, 1
	s_cselect_b32 s2, -1, 0
	s_barrier
	s_and_b32 s5, vcc_lo, s2
	buffer_gl0_inv
	s_and_saveexec_b32 s2, s5
	s_cbranch_execz .LBB15_28
; %bb.20:
	v_mov_b32_e32 v1, 0
	s_add_i32 s5, s3, -2
	s_add_i32 s3, s3, -1
	s_cmp_lt_u32 s5, 7
	ds_load_b64 v[1:2], v1
	s_cbranch_scc1 .LBB15_24
; %bb.21:
	s_and_b32 s4, s3, -8
	s_mov_b32 s6, 0
	s_mov_b32 s5, 8
	s_set_inst_prefetch_distance 0x1
	.p2align	6
.LBB15_22:                              ; =>This Inner Loop Header: Depth=1
	v_mov_b32_e32 v16, s5
	s_mov_b32 s7, s6
	s_add_i32 s6, s6, 8
	s_add_i32 s5, s5, 64
	s_cmp_lg_u32 s4, s6
	ds_load_2addr_b64 v[4:7], v16 offset1:1
	ds_load_2addr_b64 v[8:11], v16 offset0:2 offset1:3
	ds_load_2addr_b64 v[12:15], v16 offset0:4 offset1:5
	s_waitcnt lgkmcnt(2)
	v_add_co_u32 v1, vcc_lo, v1, v4
	v_add_co_ci_u32_e32 v2, vcc_lo, v2, v5, vcc_lo
	s_delay_alu instid0(VALU_DEP_2) | instskip(NEXT) | instid1(VALU_DEP_2)
	v_add_co_u32 v1, vcc_lo, v1, v6
	v_add_co_ci_u32_e32 v2, vcc_lo, v2, v7, vcc_lo
	ds_load_2addr_b64 v[4:7], v16 offset0:6 offset1:7
	s_waitcnt lgkmcnt(2)
	v_add_co_u32 v1, vcc_lo, v1, v8
	v_add_co_ci_u32_e32 v2, vcc_lo, v2, v9, vcc_lo
	s_delay_alu instid0(VALU_DEP_2) | instskip(NEXT) | instid1(VALU_DEP_2)
	v_add_co_u32 v1, vcc_lo, v1, v10
	v_add_co_ci_u32_e32 v2, vcc_lo, v2, v11, vcc_lo
	s_waitcnt lgkmcnt(1)
	s_delay_alu instid0(VALU_DEP_2) | instskip(NEXT) | instid1(VALU_DEP_2)
	v_add_co_u32 v1, vcc_lo, v1, v12
	v_add_co_ci_u32_e32 v2, vcc_lo, v2, v13, vcc_lo
	s_delay_alu instid0(VALU_DEP_2) | instskip(NEXT) | instid1(VALU_DEP_2)
	v_add_co_u32 v1, vcc_lo, v1, v14
	v_add_co_ci_u32_e32 v2, vcc_lo, v2, v15, vcc_lo
	s_waitcnt lgkmcnt(0)
	s_delay_alu instid0(VALU_DEP_2) | instskip(NEXT) | instid1(VALU_DEP_2)
	v_add_co_u32 v1, vcc_lo, v1, v4
	v_add_co_ci_u32_e32 v2, vcc_lo, v2, v5, vcc_lo
	s_delay_alu instid0(VALU_DEP_2) | instskip(NEXT) | instid1(VALU_DEP_2)
	v_add_co_u32 v1, vcc_lo, v1, v6
	v_add_co_ci_u32_e32 v2, vcc_lo, v2, v7, vcc_lo
	s_cbranch_scc1 .LBB15_22
; %bb.23:
	s_set_inst_prefetch_distance 0x2
	s_add_i32 s4, s7, 9
.LBB15_24:
	s_and_b32 s3, s3, 7
	s_delay_alu instid0(SALU_CYCLE_1)
	s_cmp_eq_u32 s3, 0
	s_cbranch_scc1 .LBB15_27
; %bb.25:
	s_lshl_b32 s4, s4, 3
.LBB15_26:                              ; =>This Inner Loop Header: Depth=1
	s_delay_alu instid0(SALU_CYCLE_1)
	v_mov_b32_e32 v4, s4
	s_add_i32 s3, s3, -1
	s_add_i32 s4, s4, 8
	s_cmp_lg_u32 s3, 0
	ds_load_b64 v[4:5], v4
	s_waitcnt lgkmcnt(0)
	v_add_co_u32 v1, vcc_lo, v1, v4
	v_add_co_ci_u32_e32 v2, vcc_lo, v2, v5, vcc_lo
	s_cbranch_scc1 .LBB15_26
.LBB15_27:
	v_mov_b32_e32 v4, 0
	s_waitcnt lgkmcnt(0)
	ds_store_b64 v4, v[1:2]
.LBB15_28:
	s_or_b32 exec_lo, exec_lo, s2
	s_mov_b32 s2, 0
	s_waitcnt lgkmcnt(0)
	s_barrier
.LBB15_29:
	s_and_b32 vcc_lo, exec_lo, s2
	s_cbranch_vccz .LBB15_47
; %bb.30:
	s_mov_b32 s2, exec_lo
	s_barrier
	buffer_gl0_inv
	v_cmpx_gt_u32_e32 0x80, v0
	s_cbranch_execz .LBB15_32
; %bb.31:
	ds_load_2addr_stride64_b64 v[4:7], v3 offset1:2
	s_waitcnt lgkmcnt(0)
	v_add_co_u32 v1, vcc_lo, v4, v6
	v_add_co_ci_u32_e32 v2, vcc_lo, v5, v7, vcc_lo
	ds_store_b64 v3, v[1:2]
.LBB15_32:
	s_or_b32 exec_lo, exec_lo, s2
	s_delay_alu instid0(SALU_CYCLE_1)
	s_mov_b32 s2, exec_lo
	s_waitcnt lgkmcnt(0)
	s_barrier
	buffer_gl0_inv
	v_cmpx_gt_u32_e32 64, v0
	s_cbranch_execz .LBB15_34
; %bb.33:
	ds_load_2addr_stride64_b64 v[4:7], v3 offset1:1
	s_waitcnt lgkmcnt(0)
	v_add_co_u32 v1, vcc_lo, v4, v6
	v_add_co_ci_u32_e32 v2, vcc_lo, v5, v7, vcc_lo
	ds_store_b64 v3, v[1:2]
.LBB15_34:
	s_or_b32 exec_lo, exec_lo, s2
	s_delay_alu instid0(SALU_CYCLE_1)
	s_mov_b32 s2, exec_lo
	s_waitcnt lgkmcnt(0)
	s_barrier
	buffer_gl0_inv
	v_cmpx_gt_u32_e32 32, v0
	s_cbranch_execz .LBB15_36
; %bb.35:
	ds_load_2addr_b64 v[4:7], v3 offset1:32
	s_waitcnt lgkmcnt(0)
	v_add_co_u32 v1, vcc_lo, v4, v6
	v_add_co_ci_u32_e32 v2, vcc_lo, v5, v7, vcc_lo
	ds_store_b64 v3, v[1:2]
.LBB15_36:
	s_or_b32 exec_lo, exec_lo, s2
	s_delay_alu instid0(SALU_CYCLE_1)
	s_mov_b32 s2, exec_lo
	s_waitcnt lgkmcnt(0)
	s_barrier
	buffer_gl0_inv
	v_cmpx_gt_u32_e32 16, v0
	s_cbranch_execz .LBB15_38
; %bb.37:
	ds_load_2addr_b64 v[4:7], v3 offset1:16
	s_waitcnt lgkmcnt(0)
	v_add_co_u32 v1, vcc_lo, v4, v6
	v_add_co_ci_u32_e32 v2, vcc_lo, v5, v7, vcc_lo
	ds_store_b64 v3, v[1:2]
.LBB15_38:
	;; [unrolled: 15-line block ×5, first 2 shown]
	s_or_b32 exec_lo, exec_lo, s2
	s_delay_alu instid0(SALU_CYCLE_1)
	s_mov_b32 s2, exec_lo
	s_waitcnt lgkmcnt(0)
	s_barrier
	buffer_gl0_inv
	v_cmpx_eq_u32_e32 0, v0
	s_cbranch_execz .LBB15_46
; %bb.45:
	v_mov_b32_e32 v5, 0
	ds_load_b128 v[1:4], v5
	s_waitcnt lgkmcnt(0)
	v_add_co_u32 v1, vcc_lo, v1, v3
	v_add_co_ci_u32_e32 v2, vcc_lo, v2, v4, vcc_lo
	ds_store_b64 v5, v[1:2]
.LBB15_46:
	s_or_b32 exec_lo, exec_lo, s2
	s_waitcnt lgkmcnt(0)
	s_barrier
.LBB15_47:
	buffer_gl0_inv
	s_mov_b32 s2, exec_lo
	v_cmpx_eq_u32_e32 0, v0
	s_cbranch_execz .LBB15_49
; %bb.48:
	v_mov_b32_e32 v2, 0
	s_load_b64 s[0:1], s[0:1], 0x20
	s_ashr_i32 s9, s8, 31
	s_delay_alu instid0(SALU_CYCLE_1)
	s_lshl_b64 s[2:3], s[8:9], 3
	ds_load_b64 v[0:1], v2
	s_waitcnt lgkmcnt(0)
	s_add_u32 s0, s0, s2
	s_addc_u32 s1, s1, s3
	global_store_b64 v2, v[0:1], s[0:1]
.LBB15_49:
	s_nop 0
	s_sendmsg sendmsg(MSG_DEALLOC_VGPRS)
	s_endpgm
	.section	.rodata,"a",@progbits
	.p2align	6, 0x0
	.amdhsa_kernel _ZN9rocsparseL14nnz_kernel_colILi256EliDF16_EEv16rocsparse_order_T1_S2_PKT2_lPT0_
		.amdhsa_group_segment_fixed_size 2048
		.amdhsa_private_segment_fixed_size 0
		.amdhsa_kernarg_size 40
		.amdhsa_user_sgpr_count 15
		.amdhsa_user_sgpr_dispatch_ptr 0
		.amdhsa_user_sgpr_queue_ptr 0
		.amdhsa_user_sgpr_kernarg_segment_ptr 1
		.amdhsa_user_sgpr_dispatch_id 0
		.amdhsa_user_sgpr_private_segment_size 0
		.amdhsa_wavefront_size32 1
		.amdhsa_uses_dynamic_stack 0
		.amdhsa_enable_private_segment 0
		.amdhsa_system_sgpr_workgroup_id_x 1
		.amdhsa_system_sgpr_workgroup_id_y 0
		.amdhsa_system_sgpr_workgroup_id_z 0
		.amdhsa_system_sgpr_workgroup_info 0
		.amdhsa_system_vgpr_workitem_id 0
		.amdhsa_next_free_vgpr 17
		.amdhsa_next_free_sgpr 16
		.amdhsa_reserve_vcc 1
		.amdhsa_float_round_mode_32 0
		.amdhsa_float_round_mode_16_64 0
		.amdhsa_float_denorm_mode_32 3
		.amdhsa_float_denorm_mode_16_64 3
		.amdhsa_dx10_clamp 1
		.amdhsa_ieee_mode 1
		.amdhsa_fp16_overflow 0
		.amdhsa_workgroup_processor_mode 1
		.amdhsa_memory_ordered 1
		.amdhsa_forward_progress 0
		.amdhsa_shared_vgpr_count 0
		.amdhsa_exception_fp_ieee_invalid_op 0
		.amdhsa_exception_fp_denorm_src 0
		.amdhsa_exception_fp_ieee_div_zero 0
		.amdhsa_exception_fp_ieee_overflow 0
		.amdhsa_exception_fp_ieee_underflow 0
		.amdhsa_exception_fp_ieee_inexact 0
		.amdhsa_exception_int_div_zero 0
	.end_amdhsa_kernel
	.section	.text._ZN9rocsparseL14nnz_kernel_colILi256EliDF16_EEv16rocsparse_order_T1_S2_PKT2_lPT0_,"axG",@progbits,_ZN9rocsparseL14nnz_kernel_colILi256EliDF16_EEv16rocsparse_order_T1_S2_PKT2_lPT0_,comdat
.Lfunc_end15:
	.size	_ZN9rocsparseL14nnz_kernel_colILi256EliDF16_EEv16rocsparse_order_T1_S2_PKT2_lPT0_, .Lfunc_end15-_ZN9rocsparseL14nnz_kernel_colILi256EliDF16_EEv16rocsparse_order_T1_S2_PKT2_lPT0_
                                        ; -- End function
	.section	.AMDGPU.csdata,"",@progbits
; Kernel info:
; codeLenInByte = 1768
; NumSgprs: 18
; NumVgprs: 17
; ScratchSize: 0
; MemoryBound: 0
; FloatMode: 240
; IeeeMode: 1
; LDSByteSize: 2048 bytes/workgroup (compile time only)
; SGPRBlocks: 2
; VGPRBlocks: 2
; NumSGPRsForWavesPerEU: 18
; NumVGPRsForWavesPerEU: 17
; Occupancy: 16
; WaveLimiterHint : 0
; COMPUTE_PGM_RSRC2:SCRATCH_EN: 0
; COMPUTE_PGM_RSRC2:USER_SGPR: 15
; COMPUTE_PGM_RSRC2:TRAP_HANDLER: 0
; COMPUTE_PGM_RSRC2:TGID_X_EN: 1
; COMPUTE_PGM_RSRC2:TGID_Y_EN: 0
; COMPUTE_PGM_RSRC2:TGID_Z_EN: 0
; COMPUTE_PGM_RSRC2:TIDIG_COMP_CNT: 0
	.section	.text._ZN9rocsparseL14nnz_kernel_rowILi64ELi16ElifEEv16rocsparse_order_T2_S2_PKT3_lPT1_,"axG",@progbits,_ZN9rocsparseL14nnz_kernel_rowILi64ELi16ElifEEv16rocsparse_order_T2_S2_PKT3_lPT1_,comdat
	.globl	_ZN9rocsparseL14nnz_kernel_rowILi64ELi16ElifEEv16rocsparse_order_T2_S2_PKT3_lPT1_ ; -- Begin function _ZN9rocsparseL14nnz_kernel_rowILi64ELi16ElifEEv16rocsparse_order_T2_S2_PKT3_lPT1_
	.p2align	8
	.type	_ZN9rocsparseL14nnz_kernel_rowILi64ELi16ElifEEv16rocsparse_order_T2_S2_PKT3_lPT1_,@function
_ZN9rocsparseL14nnz_kernel_rowILi64ELi16ElifEEv16rocsparse_order_T2_S2_PKT3_lPT1_: ; @_ZN9rocsparseL14nnz_kernel_rowILi64ELi16ElifEEv16rocsparse_order_T2_S2_PKT3_lPT1_
; %bb.0:
	s_clause 0x2
	s_load_b32 s2, s[0:1], 0x34
	s_load_b256 s[16:23], s[0:1], 0x0
	s_load_b64 s[6:7], s[0:1], 0x20
	s_mov_b32 s8, 0
	s_lshl_b32 s5, s15, 8
	s_mov_b32 s9, s8
	s_mov_b32 s10, s8
	;; [unrolled: 1-line block ×7, first 2 shown]
	v_and_b32_e32 v1, 0x3ff, v0
	v_bfe_u32 v0, v0, 10, 10
	s_mov_b32 s24, exec_lo
	s_waitcnt lgkmcnt(0)
	s_and_b32 s0, s2, 0xffff
	s_delay_alu instid0(VALU_DEP_1) | instid1(SALU_CYCLE_1)
	v_mad_u32_u24 v20, v0, s0, v1
	s_ashr_i32 s0, s18, 31
	s_delay_alu instid0(SALU_CYCLE_1) | instskip(NEXT) | instid1(SALU_CYCLE_1)
	s_lshr_b32 s0, s0, 26
	s_add_i32 s19, s18, s0
	s_delay_alu instid0(VALU_DEP_1) | instskip(SKIP_2) | instid1(VALU_DEP_2)
	v_lshrrev_b32_e32 v0, 4, v20
	v_and_b32_e32 v21, 63, v20
	s_and_not1_b32 s19, s19, 63
	v_and_b32_e32 v16, 0x7ffffc, v0
	v_dual_mov_b32 v0, s8 :: v_dual_mov_b32 v1, s9
	s_delay_alu instid0(VALU_DEP_3) | instskip(SKIP_3) | instid1(VALU_DEP_4)
	v_or_b32_e32 v18, s5, v21
	v_dual_mov_b32 v2, s10 :: v_dual_mov_b32 v3, s11
	v_dual_mov_b32 v4, s12 :: v_dual_mov_b32 v5, s13
	;; [unrolled: 1-line block ×3, first 2 shown]
	v_or_b32_e32 v24, 64, v18
	v_or_b32_e32 v23, 0x80, v18
	v_or_b32_e32 v22, 0xc0, v18
	v_cmpx_gt_i32_e64 s19, v16
	s_cbranch_execz .LBB16_28
; %bb.1:
	v_lshrrev_b32_e32 v15, 6, v20
	v_cmp_gt_i32_e64 s0, s17, v18
	v_cmp_gt_i32_e64 s1, s17, v24
	;; [unrolled: 1-line block ×4, first 2 shown]
	v_lshlrev_b32_e32 v27, 2, v15
	v_lshlrev_b32_e32 v35, 4, v15
	s_cmp_lg_u32 s16, 1
	s_delay_alu instid0(VALU_DEP_2) | instskip(SKIP_1) | instid1(VALU_DEP_2)
	v_or_b32_e32 v12, 3, v27
	v_or_b32_e32 v19, 2, v27
	v_mad_u64_u32 v[4:5], null, s22, v12, 0
	v_add_nc_u32_e32 v0, s5, v21
	s_delay_alu instid0(VALU_DEP_3) | instskip(NEXT) | instid1(VALU_DEP_2)
	v_mad_u64_u32 v[8:9], null, s22, v19, 0
	v_ashrrev_i32_e32 v1, 31, v0
	s_delay_alu instid0(VALU_DEP_1)
	v_mul_lo_u32 v17, s22, v1
	v_lshlrev_b64 v[6:7], 2, v[0:1]
	v_mov_b32_e32 v1, v5
	v_mad_u64_u32 v[2:3], null, s22, v0, 0
	v_mul_lo_u32 v13, s23, v0
	v_add_nc_u32_e32 v14, 64, v0
	s_delay_alu instid0(VALU_DEP_3) | instskip(SKIP_1) | instid1(VALU_DEP_4)
	v_mad_u64_u32 v[10:11], null, s23, v12, v[1:2]
	v_mov_b32_e32 v1, v9
	v_add3_u32 v3, v3, v17, v13
	s_delay_alu instid0(VALU_DEP_4)
	v_ashrrev_i32_e32 v25, 31, v14
	v_add_nc_u32_e32 v28, 0x80, v0
	v_mul_lo_u32 v26, s23, v14
	v_mad_u64_u32 v[11:12], null, s22, v14, 0
	v_mov_b32_e32 v5, v10
	v_lshlrev_b64 v[2:3], 2, v[2:3]
	v_mul_lo_u32 v25, s22, v25
	v_mad_u64_u32 v[13:14], null, s22, v27, s[22:23]
	s_delay_alu instid0(VALU_DEP_4)
	v_lshlrev_b64 v[4:5], 2, v[4:5]
	v_ashrrev_i32_e32 v29, 31, v28
	v_add_co_u32 v17, vcc_lo, v2, v35
	v_mad_u64_u32 v[9:10], null, s23, v19, v[1:2]
	v_add_co_ci_u32_e32 v19, vcc_lo, 0, v3, vcc_lo
	v_add3_u32 v12, v12, v25, v26
	v_add_co_u32 v25, vcc_lo, v4, v6
	v_add_co_ci_u32_e32 v26, vcc_lo, v5, v7, vcc_lo
	v_mad_u64_u32 v[4:5], null, s22, v28, 0
	v_mov_b32_e32 v3, v14
	v_lshlrev_b64 v[1:2], 2, v[11:12]
	v_mul_lo_u32 v12, s22, v29
	v_mul_lo_u32 v14, s23, v28
	s_delay_alu instid0(VALU_DEP_4) | instskip(SKIP_4) | instid1(VALU_DEP_4)
	v_mad_u64_u32 v[10:11], null, s23, v27, v[3:4]
	v_add_nc_u32_e32 v11, 0xc0, v0
	v_add_co_u32 v27, vcc_lo, v1, v35
	v_add_co_ci_u32_e32 v28, vcc_lo, 0, v2, vcc_lo
	v_lshlrev_b64 v[2:3], 2, v[8:9]
	v_ashrrev_i32_e32 v29, 31, v11
	v_add3_u32 v5, v5, v12, v14
	v_mad_u64_u32 v[0:1], null, s22, v15, 0
	v_mul_lo_u32 v31, s23, v11
	s_delay_alu instid0(VALU_DEP_4)
	v_mul_lo_u32 v12, s22, v29
	v_add_co_u32 v29, vcc_lo, v2, v6
	v_add_co_ci_u32_e32 v30, vcc_lo, v3, v7, vcc_lo
	v_lshlrev_b64 v[2:3], 2, v[4:5]
	v_mad_u64_u32 v[8:9], null, s22, v11, 0
	v_mov_b32_e32 v14, v10
	s_delay_alu instid0(VALU_DEP_3) | instskip(NEXT) | instid1(VALU_DEP_2)
	v_mad_u64_u32 v[4:5], null, s23, v15, v[1:2]
	v_lshlrev_b64 v[10:11], 2, v[13:14]
	s_delay_alu instid0(VALU_DEP_4) | instskip(SKIP_3) | instid1(VALU_DEP_4)
	v_add3_u32 v9, v9, v12, v31
	v_add_co_u32 v31, vcc_lo, v2, v35
	v_add_co_ci_u32_e32 v32, vcc_lo, 0, v3, vcc_lo
	v_mov_b32_e32 v1, v4
	v_lshlrev_b64 v[2:3], 2, v[8:9]
	v_add_co_u32 v33, vcc_lo, v10, v6
	v_add_co_ci_u32_e32 v34, vcc_lo, v11, v7, vcc_lo
	s_delay_alu instid0(VALU_DEP_4) | instskip(NEXT) | instid1(VALU_DEP_4)
	v_lshlrev_b64 v[0:1], 4, v[0:1]
	v_add_co_u32 v35, vcc_lo, v2, v35
	v_add_co_ci_u32_e32 v36, vcc_lo, 0, v3, vcc_lo
	s_delay_alu instid0(VALU_DEP_3) | instskip(NEXT) | instid1(VALU_DEP_4)
	v_add_co_u32 v37, vcc_lo, v0, v6
	v_add_co_ci_u32_e32 v38, vcc_lo, v1, v7, vcc_lo
	v_mov_b32_e32 v0, s8
	v_dual_mov_b32 v6, s14 :: v_dual_mov_b32 v1, s9
	v_dual_mov_b32 v2, s10 :: v_dual_mov_b32 v3, s11
	;; [unrolled: 1-line block ×3, first 2 shown]
	v_mov_b32_e32 v7, s15
	s_cselect_b32 s9, -1, 0
	s_lshl_b64 s[10:11], s[22:23], 8
	s_branch .LBB16_4
.LBB16_2:                               ;   in Loop: Header=BB16_4 Depth=1
	s_delay_alu instid0(VALU_DEP_1) | instskip(NEXT) | instid1(VALU_DEP_3)
	v_dual_mov_b32 v0, v8 :: v_dual_mov_b32 v1, v9
	v_dual_mov_b32 v2, v10 :: v_dual_mov_b32 v3, v11
	;; [unrolled: 1-line block ×4, first 2 shown]
.LBB16_3:                               ;   in Loop: Header=BB16_4 Depth=1
	s_or_b32 exec_lo, exec_lo, s4
	v_add_co_u32 v17, vcc_lo, 0x100, v17
	v_add_co_ci_u32_e32 v19, vcc_lo, 0, v19, vcc_lo
	v_add_co_u32 v25, vcc_lo, v25, s10
	v_add_co_ci_u32_e32 v26, vcc_lo, s11, v26, vcc_lo
	;; [unrolled: 2-line block ×5, first 2 shown]
	v_add_co_u32 v33, vcc_lo, v33, s10
	v_add_nc_u32_e32 v16, 64, v16
	v_add_co_ci_u32_e32 v34, vcc_lo, s11, v34, vcc_lo
	v_add_co_u32 v35, vcc_lo, 0x100, v35
	v_add_co_ci_u32_e32 v36, vcc_lo, 0, v36, vcc_lo
	s_delay_alu instid0(VALU_DEP_4) | instskip(SKIP_1) | instid1(VALU_DEP_1)
	v_cmp_le_i32_e32 vcc_lo, s19, v16
	v_add_co_u32 v37, s4, v37, s10
	v_add_co_ci_u32_e64 v38, s4, s11, v38, s4
	s_or_b32 s8, vcc_lo, s8
	s_delay_alu instid0(SALU_CYCLE_1)
	s_and_not1_b32 exec_lo, exec_lo, s8
	s_cbranch_execz .LBB16_27
.LBB16_4:                               ; =>This Inner Loop Header: Depth=1
	s_and_saveexec_b32 s4, s0
	s_cbranch_execnz .LBB16_8
; %bb.5:                                ;   in Loop: Header=BB16_4 Depth=1
	s_or_b32 exec_lo, exec_lo, s4
	s_and_saveexec_b32 s4, s1
	s_cbranch_execnz .LBB16_13
.LBB16_6:                               ;   in Loop: Header=BB16_4 Depth=1
	s_or_b32 exec_lo, exec_lo, s4
	s_and_saveexec_b32 s4, s2
	s_cbranch_execnz .LBB16_18
.LBB16_7:                               ;   in Loop: Header=BB16_4 Depth=1
	s_or_b32 exec_lo, exec_lo, s4
	s_and_saveexec_b32 s4, s3
	s_cbranch_execz .LBB16_3
	s_branch .LBB16_23
.LBB16_8:                               ;   in Loop: Header=BB16_4 Depth=1
	s_and_not1_b32 vcc_lo, exec_lo, s9
	s_cbranch_vccnz .LBB16_10
; %bb.9:                                ;   in Loop: Header=BB16_4 Depth=1
	v_add_co_u32 v8, vcc_lo, s20, v17
	v_add_co_ci_u32_e32 v9, vcc_lo, s21, v19, vcc_lo
	global_load_b128 v[9:12], v[8:9], off
	v_add_co_u32 v8, vcc_lo, v0, 1
	v_add_co_ci_u32_e32 v13, vcc_lo, 0, v1, vcc_lo
	s_waitcnt vmcnt(0)
	v_cmp_neq_f32_e32 vcc_lo, 0, v9
	s_delay_alu instid0(VALU_DEP_2) | instskip(NEXT) | instid1(VALU_DEP_1)
	v_dual_cndmask_b32 v9, v1, v13 :: v_dual_cndmask_b32 v8, v0, v8
	v_add_co_u32 v13, vcc_lo, v8, 1
	s_delay_alu instid0(VALU_DEP_2) | instskip(SKIP_1) | instid1(VALU_DEP_2)
	v_add_co_ci_u32_e32 v14, vcc_lo, 0, v9, vcc_lo
	v_cmp_neq_f32_e32 vcc_lo, 0, v10
	v_dual_cndmask_b32 v9, v9, v14 :: v_dual_cndmask_b32 v8, v8, v13
	s_delay_alu instid0(VALU_DEP_1) | instskip(NEXT) | instid1(VALU_DEP_2)
	v_add_co_u32 v10, vcc_lo, v8, 1
	v_add_co_ci_u32_e32 v13, vcc_lo, 0, v9, vcc_lo
	v_cmp_neq_f32_e32 vcc_lo, 0, v11
	v_mov_b32_e32 v11, v3
	s_delay_alu instid0(VALU_DEP_3) | instskip(SKIP_1) | instid1(VALU_DEP_2)
	v_dual_cndmask_b32 v9, v9, v13 :: v_dual_cndmask_b32 v8, v8, v10
	v_dual_mov_b32 v10, v2 :: v_dual_mov_b32 v13, v5
	v_add_co_u32 v15, vcc_lo, v8, 1
	s_delay_alu instid0(VALU_DEP_3) | instskip(SKIP_2) | instid1(VALU_DEP_3)
	v_add_co_ci_u32_e32 v39, vcc_lo, 0, v9, vcc_lo
	v_cmp_neq_f32_e32 vcc_lo, 0, v12
	v_mov_b32_e32 v12, v4
	v_dual_mov_b32 v14, v6 :: v_dual_cndmask_b32 v9, v9, v39
	v_dual_cndmask_b32 v8, v8, v15 :: v_dual_mov_b32 v15, v7
	s_cbranch_execz .LBB16_11
	s_branch .LBB16_12
.LBB16_10:                              ;   in Loop: Header=BB16_4 Depth=1
                                        ; implicit-def: $vgpr8_vgpr9_vgpr10_vgpr11_vgpr12_vgpr13_vgpr14_vgpr15
.LBB16_11:                              ;   in Loop: Header=BB16_4 Depth=1
	v_add_co_u32 v8, vcc_lo, s20, v37
	v_add_co_ci_u32_e32 v9, vcc_lo, s21, v38, vcc_lo
	global_load_b32 v10, v[8:9], off
	v_add_co_u32 v8, vcc_lo, s20, v33
	v_add_co_ci_u32_e32 v9, vcc_lo, s21, v34, vcc_lo
	global_load_b32 v11, v[8:9], off
	;; [unrolled: 3-line block ×4, first 2 shown]
	v_add_co_u32 v9, vcc_lo, v0, 1
	v_add_co_ci_u32_e32 v13, vcc_lo, 0, v1, vcc_lo
	s_waitcnt vmcnt(3)
	v_cmp_neq_f32_e32 vcc_lo, 0, v10
	s_delay_alu instid0(VALU_DEP_2) | instskip(SKIP_1) | instid1(VALU_DEP_1)
	v_cndmask_b32_e32 v1, v1, v13, vcc_lo
	v_cndmask_b32_e32 v0, v0, v9, vcc_lo
	v_add_co_u32 v9, vcc_lo, v0, 1
	s_delay_alu instid0(VALU_DEP_3) | instskip(SKIP_2) | instid1(VALU_DEP_2)
	v_add_co_ci_u32_e32 v10, vcc_lo, 0, v1, vcc_lo
	s_waitcnt vmcnt(2)
	v_cmp_neq_f32_e32 vcc_lo, 0, v11
	v_dual_cndmask_b32 v1, v1, v10 :: v_dual_cndmask_b32 v0, v0, v9
	s_delay_alu instid0(VALU_DEP_1) | instskip(NEXT) | instid1(VALU_DEP_2)
	v_add_co_u32 v9, vcc_lo, v0, 1
	v_add_co_ci_u32_e32 v10, vcc_lo, 0, v1, vcc_lo
	s_waitcnt vmcnt(1)
	v_cmp_neq_f32_e32 vcc_lo, 0, v12
	s_delay_alu instid0(VALU_DEP_2) | instskip(NEXT) | instid1(VALU_DEP_1)
	v_dual_cndmask_b32 v1, v1, v10 :: v_dual_cndmask_b32 v0, v0, v9
	v_add_co_u32 v9, vcc_lo, v0, 1
	s_delay_alu instid0(VALU_DEP_2) | instskip(SKIP_2) | instid1(VALU_DEP_2)
	v_add_co_ci_u32_e32 v10, vcc_lo, 0, v1, vcc_lo
	s_waitcnt vmcnt(0)
	v_cmp_neq_f32_e32 vcc_lo, 0, v8
	v_dual_cndmask_b32 v1, v1, v10 :: v_dual_cndmask_b32 v0, v0, v9
	v_dual_mov_b32 v15, v7 :: v_dual_mov_b32 v14, v6
	v_dual_mov_b32 v13, v5 :: v_dual_mov_b32 v12, v4
	;; [unrolled: 1-line block ×3, first 2 shown]
	s_delay_alu instid0(VALU_DEP_4)
	v_dual_mov_b32 v9, v1 :: v_dual_mov_b32 v8, v0
.LBB16_12:                              ;   in Loop: Header=BB16_4 Depth=1
	s_delay_alu instid0(VALU_DEP_1) | instskip(NEXT) | instid1(VALU_DEP_3)
	v_dual_mov_b32 v0, v8 :: v_dual_mov_b32 v1, v9
	v_dual_mov_b32 v2, v10 :: v_dual_mov_b32 v3, v11
	;; [unrolled: 1-line block ×4, first 2 shown]
	s_or_b32 exec_lo, exec_lo, s4
	s_and_saveexec_b32 s4, s1
	s_cbranch_execz .LBB16_6
.LBB16_13:                              ;   in Loop: Header=BB16_4 Depth=1
	s_and_not1_b32 vcc_lo, exec_lo, s9
	s_cbranch_vccnz .LBB16_15
; %bb.14:                               ;   in Loop: Header=BB16_4 Depth=1
	v_add_co_u32 v8, vcc_lo, s20, v27
	v_add_co_ci_u32_e32 v9, vcc_lo, s21, v28, vcc_lo
	v_add_co_u32 v12, vcc_lo, v2, 1
	v_add_co_ci_u32_e32 v13, vcc_lo, 0, v3, vcc_lo
	global_load_b128 v[8:11], v[8:9], off
	s_waitcnt vmcnt(0)
	v_cmp_neq_f32_e32 vcc_lo, 0, v8
	v_cndmask_b32_e32 v12, v2, v12, vcc_lo
	v_cndmask_b32_e32 v8, v3, v13, vcc_lo
	s_delay_alu instid0(VALU_DEP_2) | instskip(NEXT) | instid1(VALU_DEP_2)
	v_add_co_u32 v13, vcc_lo, v12, 1
	v_add_co_ci_u32_e32 v14, vcc_lo, 0, v8, vcc_lo
	v_cmp_neq_f32_e32 vcc_lo, 0, v9
	s_delay_alu instid0(VALU_DEP_3) | instskip(NEXT) | instid1(VALU_DEP_3)
	v_cndmask_b32_e32 v9, v12, v13, vcc_lo
	v_cndmask_b32_e32 v8, v8, v14, vcc_lo
	v_mov_b32_e32 v14, v6
	s_delay_alu instid0(VALU_DEP_3) | instskip(NEXT) | instid1(VALU_DEP_3)
	v_add_co_u32 v12, vcc_lo, v9, 1
	v_add_co_ci_u32_e32 v13, vcc_lo, 0, v8, vcc_lo
	v_cmp_neq_f32_e32 vcc_lo, 0, v10
	s_delay_alu instid0(VALU_DEP_2) | instskip(SKIP_2) | instid1(VALU_DEP_3)
	v_dual_cndmask_b32 v15, v9, v12 :: v_dual_cndmask_b32 v10, v8, v13
	v_dual_mov_b32 v9, v1 :: v_dual_mov_b32 v12, v4
	v_mov_b32_e32 v13, v5
	v_add_co_u32 v39, vcc_lo, v15, 1
	s_delay_alu instid0(VALU_DEP_4) | instskip(SKIP_1) | instid1(VALU_DEP_2)
	v_add_co_ci_u32_e32 v40, vcc_lo, 0, v10, vcc_lo
	v_cmp_neq_f32_e32 vcc_lo, 0, v11
	v_dual_mov_b32 v8, v0 :: v_dual_cndmask_b32 v11, v10, v40
	s_delay_alu instid0(VALU_DEP_4)
	v_cndmask_b32_e32 v10, v15, v39, vcc_lo
	v_mov_b32_e32 v15, v7
	s_cbranch_execz .LBB16_16
	s_branch .LBB16_17
.LBB16_15:                              ;   in Loop: Header=BB16_4 Depth=1
                                        ; implicit-def: $vgpr8_vgpr9_vgpr10_vgpr11_vgpr12_vgpr13_vgpr14_vgpr15
.LBB16_16:                              ;   in Loop: Header=BB16_4 Depth=1
	v_add_co_u32 v8, vcc_lo, s20, v37
	v_add_co_ci_u32_e32 v9, vcc_lo, s21, v38, vcc_lo
	global_load_b32 v10, v[8:9], off offset:256
	v_add_co_u32 v8, vcc_lo, s20, v33
	v_add_co_ci_u32_e32 v9, vcc_lo, s21, v34, vcc_lo
	global_load_b32 v11, v[8:9], off offset:256
	;; [unrolled: 3-line block ×4, first 2 shown]
	v_add_co_u32 v9, vcc_lo, v2, 1
	v_add_co_ci_u32_e32 v13, vcc_lo, 0, v3, vcc_lo
	s_waitcnt vmcnt(3)
	v_cmp_neq_f32_e32 vcc_lo, 0, v10
	s_delay_alu instid0(VALU_DEP_2) | instskip(SKIP_1) | instid1(VALU_DEP_1)
	v_cndmask_b32_e32 v3, v3, v13, vcc_lo
	v_cndmask_b32_e32 v2, v2, v9, vcc_lo
	v_add_co_u32 v9, vcc_lo, v2, 1
	s_delay_alu instid0(VALU_DEP_3) | instskip(SKIP_2) | instid1(VALU_DEP_2)
	v_add_co_ci_u32_e32 v10, vcc_lo, 0, v3, vcc_lo
	s_waitcnt vmcnt(2)
	v_cmp_neq_f32_e32 vcc_lo, 0, v11
	v_dual_cndmask_b32 v3, v3, v10 :: v_dual_cndmask_b32 v2, v2, v9
	s_delay_alu instid0(VALU_DEP_1) | instskip(NEXT) | instid1(VALU_DEP_2)
	v_add_co_u32 v9, vcc_lo, v2, 1
	v_add_co_ci_u32_e32 v10, vcc_lo, 0, v3, vcc_lo
	s_waitcnt vmcnt(1)
	v_cmp_neq_f32_e32 vcc_lo, 0, v12
	s_delay_alu instid0(VALU_DEP_2) | instskip(NEXT) | instid1(VALU_DEP_1)
	v_dual_cndmask_b32 v3, v3, v10 :: v_dual_cndmask_b32 v2, v2, v9
	v_add_co_u32 v9, vcc_lo, v2, 1
	s_delay_alu instid0(VALU_DEP_2) | instskip(SKIP_2) | instid1(VALU_DEP_2)
	v_add_co_ci_u32_e32 v10, vcc_lo, 0, v3, vcc_lo
	s_waitcnt vmcnt(0)
	v_cmp_neq_f32_e32 vcc_lo, 0, v8
	v_dual_cndmask_b32 v3, v3, v10 :: v_dual_cndmask_b32 v2, v2, v9
	v_dual_mov_b32 v15, v7 :: v_dual_mov_b32 v14, v6
	v_dual_mov_b32 v13, v5 :: v_dual_mov_b32 v12, v4
	s_delay_alu instid0(VALU_DEP_3)
	v_dual_mov_b32 v11, v3 :: v_dual_mov_b32 v10, v2
	v_dual_mov_b32 v9, v1 :: v_dual_mov_b32 v8, v0
.LBB16_17:                              ;   in Loop: Header=BB16_4 Depth=1
	s_delay_alu instid0(VALU_DEP_1) | instskip(NEXT) | instid1(VALU_DEP_3)
	v_dual_mov_b32 v0, v8 :: v_dual_mov_b32 v1, v9
	v_dual_mov_b32 v2, v10 :: v_dual_mov_b32 v3, v11
	;; [unrolled: 1-line block ×4, first 2 shown]
	s_or_b32 exec_lo, exec_lo, s4
	s_and_saveexec_b32 s4, s2
	s_cbranch_execz .LBB16_7
.LBB16_18:                              ;   in Loop: Header=BB16_4 Depth=1
	s_and_not1_b32 vcc_lo, exec_lo, s9
	s_cbranch_vccnz .LBB16_20
; %bb.19:                               ;   in Loop: Header=BB16_4 Depth=1
	v_add_co_u32 v8, vcc_lo, s20, v31
	v_add_co_ci_u32_e32 v9, vcc_lo, s21, v32, vcc_lo
	v_add_co_u32 v12, vcc_lo, v4, 1
	v_add_co_ci_u32_e32 v13, vcc_lo, 0, v5, vcc_lo
	global_load_b128 v[8:11], v[8:9], off
	s_waitcnt vmcnt(0)
	v_cmp_neq_f32_e32 vcc_lo, 0, v8
	v_cndmask_b32_e32 v12, v4, v12, vcc_lo
	v_cndmask_b32_e32 v8, v5, v13, vcc_lo
	s_delay_alu instid0(VALU_DEP_2) | instskip(NEXT) | instid1(VALU_DEP_2)
	v_add_co_u32 v13, vcc_lo, v12, 1
	v_add_co_ci_u32_e32 v14, vcc_lo, 0, v8, vcc_lo
	v_cmp_neq_f32_e32 vcc_lo, 0, v9
	s_delay_alu instid0(VALU_DEP_3) | instskip(NEXT) | instid1(VALU_DEP_3)
	v_cndmask_b32_e32 v9, v12, v13, vcc_lo
	v_cndmask_b32_e32 v8, v8, v14, vcc_lo
	v_mov_b32_e32 v14, v6
	s_delay_alu instid0(VALU_DEP_3) | instskip(NEXT) | instid1(VALU_DEP_3)
	v_add_co_u32 v12, vcc_lo, v9, 1
	v_add_co_ci_u32_e32 v13, vcc_lo, 0, v8, vcc_lo
	v_cmp_neq_f32_e32 vcc_lo, 0, v10
	s_delay_alu instid0(VALU_DEP_2) | instskip(NEXT) | instid1(VALU_DEP_4)
	v_dual_mov_b32 v10, v2 :: v_dual_cndmask_b32 v13, v8, v13
	v_cndmask_b32_e32 v12, v9, v12, vcc_lo
	v_dual_mov_b32 v8, v0 :: v_dual_mov_b32 v9, v1
	s_delay_alu instid0(VALU_DEP_2) | instskip(NEXT) | instid1(VALU_DEP_4)
	v_add_co_u32 v15, vcc_lo, v12, 1
	v_add_co_ci_u32_e32 v39, vcc_lo, 0, v13, vcc_lo
	v_cmp_neq_f32_e32 vcc_lo, 0, v11
	v_mov_b32_e32 v11, v3
	s_delay_alu instid0(VALU_DEP_3)
	v_cndmask_b32_e32 v13, v13, v39, vcc_lo
	v_dual_cndmask_b32 v12, v12, v15 :: v_dual_mov_b32 v15, v7
	s_cbranch_execz .LBB16_21
	s_branch .LBB16_22
.LBB16_20:                              ;   in Loop: Header=BB16_4 Depth=1
                                        ; implicit-def: $vgpr8_vgpr9_vgpr10_vgpr11_vgpr12_vgpr13_vgpr14_vgpr15
.LBB16_21:                              ;   in Loop: Header=BB16_4 Depth=1
	v_add_co_u32 v8, vcc_lo, s20, v37
	v_add_co_ci_u32_e32 v9, vcc_lo, s21, v38, vcc_lo
	global_load_b32 v10, v[8:9], off offset:512
	v_add_co_u32 v8, vcc_lo, s20, v33
	v_add_co_ci_u32_e32 v9, vcc_lo, s21, v34, vcc_lo
	global_load_b32 v11, v[8:9], off offset:512
	;; [unrolled: 3-line block ×4, first 2 shown]
	v_add_co_u32 v9, vcc_lo, v4, 1
	v_add_co_ci_u32_e32 v13, vcc_lo, 0, v5, vcc_lo
	s_waitcnt vmcnt(3)
	v_cmp_neq_f32_e32 vcc_lo, 0, v10
	s_delay_alu instid0(VALU_DEP_2) | instskip(SKIP_1) | instid1(VALU_DEP_1)
	v_cndmask_b32_e32 v5, v5, v13, vcc_lo
	v_cndmask_b32_e32 v4, v4, v9, vcc_lo
	v_add_co_u32 v9, vcc_lo, v4, 1
	s_delay_alu instid0(VALU_DEP_3) | instskip(SKIP_2) | instid1(VALU_DEP_2)
	v_add_co_ci_u32_e32 v10, vcc_lo, 0, v5, vcc_lo
	s_waitcnt vmcnt(2)
	v_cmp_neq_f32_e32 vcc_lo, 0, v11
	v_dual_cndmask_b32 v5, v5, v10 :: v_dual_cndmask_b32 v4, v4, v9
	s_delay_alu instid0(VALU_DEP_1) | instskip(NEXT) | instid1(VALU_DEP_2)
	v_add_co_u32 v9, vcc_lo, v4, 1
	v_add_co_ci_u32_e32 v10, vcc_lo, 0, v5, vcc_lo
	s_waitcnt vmcnt(1)
	v_cmp_neq_f32_e32 vcc_lo, 0, v12
	s_delay_alu instid0(VALU_DEP_2) | instskip(NEXT) | instid1(VALU_DEP_1)
	v_dual_cndmask_b32 v5, v5, v10 :: v_dual_cndmask_b32 v4, v4, v9
	v_add_co_u32 v9, vcc_lo, v4, 1
	s_delay_alu instid0(VALU_DEP_2) | instskip(SKIP_2) | instid1(VALU_DEP_2)
	v_add_co_ci_u32_e32 v10, vcc_lo, 0, v5, vcc_lo
	s_waitcnt vmcnt(0)
	v_cmp_neq_f32_e32 vcc_lo, 0, v8
	v_dual_cndmask_b32 v5, v5, v10 :: v_dual_cndmask_b32 v4, v4, v9
	v_dual_mov_b32 v15, v7 :: v_dual_mov_b32 v14, v6
	v_dual_mov_b32 v11, v3 :: v_dual_mov_b32 v10, v2
	s_delay_alu instid0(VALU_DEP_3)
	v_dual_mov_b32 v13, v5 :: v_dual_mov_b32 v12, v4
	v_dual_mov_b32 v9, v1 :: v_dual_mov_b32 v8, v0
.LBB16_22:                              ;   in Loop: Header=BB16_4 Depth=1
	s_delay_alu instid0(VALU_DEP_1) | instskip(NEXT) | instid1(VALU_DEP_4)
	v_dual_mov_b32 v0, v8 :: v_dual_mov_b32 v1, v9
	v_dual_mov_b32 v2, v10 :: v_dual_mov_b32 v3, v11
	s_delay_alu instid0(VALU_DEP_3)
	v_dual_mov_b32 v4, v12 :: v_dual_mov_b32 v5, v13
	v_dual_mov_b32 v6, v14 :: v_dual_mov_b32 v7, v15
	s_or_b32 exec_lo, exec_lo, s4
	s_and_saveexec_b32 s4, s3
	s_cbranch_execz .LBB16_3
.LBB16_23:                              ;   in Loop: Header=BB16_4 Depth=1
	s_and_not1_b32 vcc_lo, exec_lo, s9
	s_cbranch_vccnz .LBB16_25
; %bb.24:                               ;   in Loop: Header=BB16_4 Depth=1
	v_add_co_u32 v8, vcc_lo, s20, v35
	v_add_co_ci_u32_e32 v9, vcc_lo, s21, v36, vcc_lo
	v_add_co_u32 v12, vcc_lo, v6, 1
	v_add_co_ci_u32_e32 v13, vcc_lo, 0, v7, vcc_lo
	global_load_b128 v[8:11], v[8:9], off
	s_waitcnt vmcnt(0)
	v_cmp_neq_f32_e32 vcc_lo, 0, v8
	v_cndmask_b32_e32 v12, v6, v12, vcc_lo
	v_cndmask_b32_e32 v8, v7, v13, vcc_lo
	s_delay_alu instid0(VALU_DEP_2) | instskip(NEXT) | instid1(VALU_DEP_2)
	v_add_co_u32 v13, vcc_lo, v12, 1
	v_add_co_ci_u32_e32 v14, vcc_lo, 0, v8, vcc_lo
	v_cmp_neq_f32_e32 vcc_lo, 0, v9
	s_delay_alu instid0(VALU_DEP_3) | instskip(NEXT) | instid1(VALU_DEP_3)
	v_cndmask_b32_e32 v9, v12, v13, vcc_lo
	v_cndmask_b32_e32 v8, v8, v14, vcc_lo
	s_delay_alu instid0(VALU_DEP_2) | instskip(NEXT) | instid1(VALU_DEP_2)
	v_add_co_u32 v12, vcc_lo, v9, 1
	v_add_co_ci_u32_e32 v13, vcc_lo, 0, v8, vcc_lo
	v_cmp_neq_f32_e32 vcc_lo, 0, v10
	v_mov_b32_e32 v10, v2
	s_delay_alu instid0(VALU_DEP_3) | instskip(SKIP_1) | instid1(VALU_DEP_2)
	v_dual_cndmask_b32 v14, v9, v12 :: v_dual_cndmask_b32 v13, v8, v13
	v_dual_mov_b32 v9, v1 :: v_dual_mov_b32 v12, v4
	v_add_co_u32 v39, vcc_lo, v14, 1
	s_delay_alu instid0(VALU_DEP_3) | instskip(SKIP_2) | instid1(VALU_DEP_3)
	v_add_co_ci_u32_e32 v15, vcc_lo, 0, v13, vcc_lo
	v_cmp_neq_f32_e32 vcc_lo, 0, v11
	v_dual_mov_b32 v8, v0 :: v_dual_mov_b32 v11, v3
	v_cndmask_b32_e32 v15, v13, v15, vcc_lo
	v_dual_cndmask_b32 v14, v14, v39 :: v_dual_mov_b32 v13, v5
	s_cbranch_execnz .LBB16_2
	s_branch .LBB16_26
.LBB16_25:                              ;   in Loop: Header=BB16_4 Depth=1
                                        ; implicit-def: $vgpr8_vgpr9_vgpr10_vgpr11_vgpr12_vgpr13_vgpr14_vgpr15
.LBB16_26:                              ;   in Loop: Header=BB16_4 Depth=1
	v_add_co_u32 v8, vcc_lo, s20, v37
	v_add_co_ci_u32_e32 v9, vcc_lo, s21, v38, vcc_lo
	global_load_b32 v10, v[8:9], off offset:768
	v_add_co_u32 v8, vcc_lo, s20, v33
	v_add_co_ci_u32_e32 v9, vcc_lo, s21, v34, vcc_lo
	global_load_b32 v11, v[8:9], off offset:768
	;; [unrolled: 3-line block ×4, first 2 shown]
	v_add_co_u32 v9, vcc_lo, v6, 1
	v_add_co_ci_u32_e32 v13, vcc_lo, 0, v7, vcc_lo
	s_waitcnt vmcnt(3)
	v_cmp_neq_f32_e32 vcc_lo, 0, v10
	s_delay_alu instid0(VALU_DEP_2) | instskip(SKIP_1) | instid1(VALU_DEP_1)
	v_cndmask_b32_e32 v7, v7, v13, vcc_lo
	v_cndmask_b32_e32 v6, v6, v9, vcc_lo
	v_add_co_u32 v9, vcc_lo, v6, 1
	s_delay_alu instid0(VALU_DEP_3) | instskip(SKIP_2) | instid1(VALU_DEP_2)
	v_add_co_ci_u32_e32 v10, vcc_lo, 0, v7, vcc_lo
	s_waitcnt vmcnt(2)
	v_cmp_neq_f32_e32 vcc_lo, 0, v11
	v_dual_cndmask_b32 v7, v7, v10 :: v_dual_cndmask_b32 v6, v6, v9
	s_delay_alu instid0(VALU_DEP_1) | instskip(NEXT) | instid1(VALU_DEP_2)
	v_add_co_u32 v9, vcc_lo, v6, 1
	v_add_co_ci_u32_e32 v10, vcc_lo, 0, v7, vcc_lo
	s_waitcnt vmcnt(1)
	v_cmp_neq_f32_e32 vcc_lo, 0, v12
	s_delay_alu instid0(VALU_DEP_2) | instskip(NEXT) | instid1(VALU_DEP_1)
	v_dual_cndmask_b32 v7, v7, v10 :: v_dual_cndmask_b32 v6, v6, v9
	v_add_co_u32 v9, vcc_lo, v6, 1
	s_delay_alu instid0(VALU_DEP_2) | instskip(SKIP_2) | instid1(VALU_DEP_2)
	v_add_co_ci_u32_e32 v10, vcc_lo, 0, v7, vcc_lo
	s_waitcnt vmcnt(0)
	v_cmp_neq_f32_e32 vcc_lo, 0, v8
	v_dual_cndmask_b32 v7, v7, v10 :: v_dual_cndmask_b32 v6, v6, v9
	s_delay_alu instid0(VALU_DEP_1)
	v_dual_mov_b32 v15, v7 :: v_dual_mov_b32 v14, v6
	v_dual_mov_b32 v13, v5 :: v_dual_mov_b32 v12, v4
	;; [unrolled: 1-line block ×4, first 2 shown]
	s_branch .LBB16_2
.LBB16_27:
	s_or_b32 exec_lo, exec_lo, s8
.LBB16_28:
	s_delay_alu instid0(SALU_CYCLE_1) | instskip(SKIP_1) | instid1(SALU_CYCLE_1)
	s_or_b32 exec_lo, exec_lo, s24
	s_sub_i32 s0, s18, s19
	s_cmp_lt_i32 s0, 1
	s_cbranch_scc1 .LBB16_126
; %bb.29:
	v_mov_b32_e32 v17, 0
	s_cmp_eq_u32 s16, 1
	v_ashrrev_i32_e32 v19, 31, v18
	s_cselect_b32 s1, -1, 0
	s_cmp_lg_u32 s16, 1
	v_lshlrev_b64 v[8:9], 2, v[16:17]
	s_mov_b32 s2, exec_lo
	s_delay_alu instid0(VALU_DEP_1) | instskip(NEXT) | instid1(VALU_DEP_1)
	v_add_co_u32 v12, s0, s20, v8
	v_add_co_ci_u32_e64 v13, s0, s21, v9, s0
	s_cselect_b32 s0, -1, 0
	v_cmpx_gt_i32_e64 s17, v18
	s_cbranch_execnz .LBB16_33
; %bb.30:
	s_or_b32 exec_lo, exec_lo, s2
	s_delay_alu instid0(SALU_CYCLE_1)
	s_mov_b32 s2, exec_lo
	v_cmpx_gt_i32_e64 s17, v24
	s_cbranch_execnz .LBB16_56
.LBB16_31:
	s_or_b32 exec_lo, exec_lo, s2
	s_delay_alu instid0(SALU_CYCLE_1)
	s_mov_b32 s2, exec_lo
	v_cmpx_gt_i32_e64 s17, v23
	s_cbranch_execnz .LBB16_79
.LBB16_32:
	s_or_b32 exec_lo, exec_lo, s2
	s_delay_alu instid0(SALU_CYCLE_1)
	s_mov_b32 s2, exec_lo
	v_cmpx_gt_i32_e64 s17, v22
	s_cbranch_execnz .LBB16_102
	s_branch .LBB16_125
.LBB16_33:
	v_mul_lo_u32 v10, v18, s23
	v_mul_lo_u32 v11, v19, s22
	v_mad_u64_u32 v[8:9], null, v18, s22, 0
	s_mov_b32 s3, exec_lo
	s_delay_alu instid0(VALU_DEP_1) | instskip(SKIP_1) | instid1(VALU_DEP_2)
	v_add3_u32 v9, v9, v10, v11
	v_lshlrev_b64 v[10:11], 2, v[18:19]
	v_lshlrev_b64 v[8:9], 2, v[8:9]
	s_delay_alu instid0(VALU_DEP_2) | instskip(NEXT) | instid1(VALU_DEP_3)
	v_add_co_u32 v14, vcc_lo, s20, v10
	v_add_co_ci_u32_e32 v15, vcc_lo, s21, v11, vcc_lo
	s_delay_alu instid0(VALU_DEP_3) | instskip(NEXT) | instid1(VALU_DEP_4)
	v_add_co_u32 v8, vcc_lo, v12, v8
	v_add_co_ci_u32_e32 v9, vcc_lo, v13, v9, vcc_lo
	v_cmpx_gt_i32_e64 s18, v16
	s_cbranch_execz .LBB16_37
; %bb.34:
	s_delay_alu instid0(VALU_DEP_2)
	v_dual_mov_b32 v11, v9 :: v_dual_mov_b32 v10, v8
	s_and_not1_b32 vcc_lo, exec_lo, s1
	s_cbranch_vccnz .LBB16_36
; %bb.35:
	v_mad_u64_u32 v[10:11], null, v16, s22, 0
	s_delay_alu instid0(VALU_DEP_1) | instskip(NEXT) | instid1(VALU_DEP_1)
	v_mad_u64_u32 v[25:26], null, v16, s23, v[11:12]
	v_mov_b32_e32 v11, v25
	s_delay_alu instid0(VALU_DEP_1) | instskip(NEXT) | instid1(VALU_DEP_1)
	v_lshlrev_b64 v[10:11], 2, v[10:11]
	v_add_co_u32 v10, vcc_lo, v14, v10
	s_delay_alu instid0(VALU_DEP_2)
	v_add_co_ci_u32_e32 v11, vcc_lo, v15, v11, vcc_lo
.LBB16_36:
	global_load_b32 v10, v[10:11], off
	s_waitcnt vmcnt(0)
	v_cmp_neq_f32_e32 vcc_lo, 0, v10
	v_cndmask_b32_e64 v10, 0, 1, vcc_lo
	s_delay_alu instid0(VALU_DEP_1)
	v_add_co_u32 v0, vcc_lo, v0, v10
	v_add_co_ci_u32_e32 v1, vcc_lo, 0, v1, vcc_lo
.LBB16_37:
	s_or_b32 exec_lo, exec_lo, s3
	v_or_b32_e32 v17, 1, v16
	s_mov_b32 s3, exec_lo
	s_delay_alu instid0(VALU_DEP_1)
	v_cmpx_gt_i32_e64 s18, v17
	s_cbranch_execz .LBB16_43
; %bb.38:
	s_and_not1_b32 vcc_lo, exec_lo, s0
	s_cbranch_vccnz .LBB16_40
; %bb.39:
	v_add_co_u32 v10, vcc_lo, v8, 4
	v_add_co_ci_u32_e32 v11, vcc_lo, 0, v9, vcc_lo
	s_cbranch_execz .LBB16_41
	s_branch .LBB16_42
.LBB16_40:
                                        ; implicit-def: $vgpr10_vgpr11
.LBB16_41:
	v_mad_u64_u32 v[10:11], null, v17, s22, 0
	s_delay_alu instid0(VALU_DEP_1) | instskip(NEXT) | instid1(VALU_DEP_1)
	v_mad_u64_u32 v[25:26], null, v17, s23, v[11:12]
	v_mov_b32_e32 v11, v25
	s_delay_alu instid0(VALU_DEP_1) | instskip(NEXT) | instid1(VALU_DEP_1)
	v_lshlrev_b64 v[10:11], 2, v[10:11]
	v_add_co_u32 v10, vcc_lo, v14, v10
	s_delay_alu instid0(VALU_DEP_2)
	v_add_co_ci_u32_e32 v11, vcc_lo, v15, v11, vcc_lo
.LBB16_42:
	global_load_b32 v10, v[10:11], off
	s_waitcnt vmcnt(0)
	v_cmp_neq_f32_e32 vcc_lo, 0, v10
	v_cndmask_b32_e64 v10, 0, 1, vcc_lo
	s_delay_alu instid0(VALU_DEP_1)
	v_add_co_u32 v0, vcc_lo, v0, v10
	v_add_co_ci_u32_e32 v1, vcc_lo, 0, v1, vcc_lo
.LBB16_43:
	s_or_b32 exec_lo, exec_lo, s3
	v_or_b32_e32 v17, 2, v16
	s_mov_b32 s3, exec_lo
	s_delay_alu instid0(VALU_DEP_1)
	v_cmpx_gt_i32_e64 s18, v17
	s_cbranch_execz .LBB16_49
; %bb.44:
	s_and_not1_b32 vcc_lo, exec_lo, s0
	s_cbranch_vccnz .LBB16_46
; %bb.45:
	v_add_co_u32 v10, vcc_lo, v8, 8
	v_add_co_ci_u32_e32 v11, vcc_lo, 0, v9, vcc_lo
	s_cbranch_execz .LBB16_47
	s_branch .LBB16_48
.LBB16_46:
                                        ; implicit-def: $vgpr10_vgpr11
.LBB16_47:
	v_mad_u64_u32 v[10:11], null, v17, s22, 0
	s_delay_alu instid0(VALU_DEP_1) | instskip(NEXT) | instid1(VALU_DEP_1)
	v_mad_u64_u32 v[25:26], null, v17, s23, v[11:12]
	v_mov_b32_e32 v11, v25
	s_delay_alu instid0(VALU_DEP_1) | instskip(NEXT) | instid1(VALU_DEP_1)
	v_lshlrev_b64 v[10:11], 2, v[10:11]
	v_add_co_u32 v10, vcc_lo, v14, v10
	s_delay_alu instid0(VALU_DEP_2)
	v_add_co_ci_u32_e32 v11, vcc_lo, v15, v11, vcc_lo
.LBB16_48:
	global_load_b32 v10, v[10:11], off
	s_waitcnt vmcnt(0)
	v_cmp_neq_f32_e32 vcc_lo, 0, v10
	v_cndmask_b32_e64 v10, 0, 1, vcc_lo
	s_delay_alu instid0(VALU_DEP_1)
	v_add_co_u32 v0, vcc_lo, v0, v10
	v_add_co_ci_u32_e32 v1, vcc_lo, 0, v1, vcc_lo
.LBB16_49:
	s_or_b32 exec_lo, exec_lo, s3
	v_or_b32_e32 v10, 3, v16
	s_mov_b32 s3, exec_lo
	s_delay_alu instid0(VALU_DEP_1)
	v_cmpx_gt_i32_e64 s18, v10
	s_cbranch_execz .LBB16_55
; %bb.50:
	s_and_not1_b32 vcc_lo, exec_lo, s0
	s_cbranch_vccnz .LBB16_52
; %bb.51:
	v_add_co_u32 v8, vcc_lo, v8, 12
	v_add_co_ci_u32_e32 v9, vcc_lo, 0, v9, vcc_lo
	s_cbranch_execz .LBB16_53
	s_branch .LBB16_54
.LBB16_52:
                                        ; implicit-def: $vgpr8_vgpr9
.LBB16_53:
	v_mad_u64_u32 v[8:9], null, v10, s22, 0
	s_delay_alu instid0(VALU_DEP_1) | instskip(NEXT) | instid1(VALU_DEP_1)
	v_mad_u64_u32 v[25:26], null, v10, s23, v[9:10]
	v_mov_b32_e32 v9, v25
	s_delay_alu instid0(VALU_DEP_1) | instskip(NEXT) | instid1(VALU_DEP_1)
	v_lshlrev_b64 v[8:9], 2, v[8:9]
	v_add_co_u32 v8, vcc_lo, v14, v8
	s_delay_alu instid0(VALU_DEP_2)
	v_add_co_ci_u32_e32 v9, vcc_lo, v15, v9, vcc_lo
.LBB16_54:
	global_load_b32 v8, v[8:9], off
	s_waitcnt vmcnt(0)
	v_cmp_neq_f32_e32 vcc_lo, 0, v8
	v_cndmask_b32_e64 v8, 0, 1, vcc_lo
	s_delay_alu instid0(VALU_DEP_1)
	v_add_co_u32 v0, vcc_lo, v0, v8
	v_add_co_ci_u32_e32 v1, vcc_lo, 0, v1, vcc_lo
.LBB16_55:
	s_or_b32 exec_lo, exec_lo, s3
	s_delay_alu instid0(SALU_CYCLE_1) | instskip(NEXT) | instid1(SALU_CYCLE_1)
	s_or_b32 exec_lo, exec_lo, s2
	s_mov_b32 s2, exec_lo
	v_cmpx_gt_i32_e64 s17, v24
	s_cbranch_execz .LBB16_31
.LBB16_56:
	v_ashrrev_i32_e32 v10, 31, v24
	v_mul_lo_u32 v11, v24, s23
	v_mad_u64_u32 v[8:9], null, v24, s22, 0
	s_mov_b32 s3, exec_lo
	s_delay_alu instid0(VALU_DEP_3) | instskip(NEXT) | instid1(VALU_DEP_1)
	v_mul_lo_u32 v10, v10, s22
	v_add3_u32 v9, v9, v11, v10
	v_lshlrev_b64 v[10:11], 2, v[18:19]
	s_delay_alu instid0(VALU_DEP_2) | instskip(NEXT) | instid1(VALU_DEP_2)
	v_lshlrev_b64 v[8:9], 2, v[8:9]
	v_add_co_u32 v14, vcc_lo, s20, v10
	s_delay_alu instid0(VALU_DEP_3) | instskip(NEXT) | instid1(VALU_DEP_3)
	v_add_co_ci_u32_e32 v15, vcc_lo, s21, v11, vcc_lo
	v_add_co_u32 v8, vcc_lo, v12, v8
	s_delay_alu instid0(VALU_DEP_4)
	v_add_co_ci_u32_e32 v9, vcc_lo, v13, v9, vcc_lo
	v_cmpx_gt_i32_e64 s18, v16
	s_cbranch_execz .LBB16_60
; %bb.57:
	s_delay_alu instid0(VALU_DEP_2)
	v_dual_mov_b32 v11, v9 :: v_dual_mov_b32 v10, v8
	s_and_not1_b32 vcc_lo, exec_lo, s1
	s_cbranch_vccnz .LBB16_59
; %bb.58:
	v_mad_u64_u32 v[10:11], null, v16, s22, 0
	s_delay_alu instid0(VALU_DEP_1) | instskip(NEXT) | instid1(VALU_DEP_1)
	v_mad_u64_u32 v[24:25], null, v16, s23, v[11:12]
	v_mov_b32_e32 v11, v24
	s_delay_alu instid0(VALU_DEP_1) | instskip(NEXT) | instid1(VALU_DEP_1)
	v_lshlrev_b64 v[10:11], 2, v[10:11]
	v_add_co_u32 v10, vcc_lo, v14, v10
	s_delay_alu instid0(VALU_DEP_2) | instskip(NEXT) | instid1(VALU_DEP_2)
	v_add_co_ci_u32_e32 v11, vcc_lo, v15, v11, vcc_lo
	v_add_co_u32 v10, vcc_lo, 0x100, v10
	s_delay_alu instid0(VALU_DEP_2)
	v_add_co_ci_u32_e32 v11, vcc_lo, 0, v11, vcc_lo
.LBB16_59:
	global_load_b32 v10, v[10:11], off
	s_waitcnt vmcnt(0)
	v_cmp_neq_f32_e32 vcc_lo, 0, v10
	v_cndmask_b32_e64 v10, 0, 1, vcc_lo
	s_delay_alu instid0(VALU_DEP_1)
	v_add_co_u32 v2, vcc_lo, v2, v10
	v_add_co_ci_u32_e32 v3, vcc_lo, 0, v3, vcc_lo
.LBB16_60:
	s_or_b32 exec_lo, exec_lo, s3
	v_or_b32_e32 v17, 1, v16
	s_mov_b32 s3, exec_lo
	s_delay_alu instid0(VALU_DEP_1)
	v_cmpx_gt_i32_e64 s18, v17
	s_cbranch_execz .LBB16_66
; %bb.61:
	s_and_not1_b32 vcc_lo, exec_lo, s0
	s_cbranch_vccnz .LBB16_63
; %bb.62:
	v_add_co_u32 v10, vcc_lo, v8, 4
	v_add_co_ci_u32_e32 v11, vcc_lo, 0, v9, vcc_lo
	s_cbranch_execz .LBB16_64
	s_branch .LBB16_65
.LBB16_63:
                                        ; implicit-def: $vgpr10_vgpr11
.LBB16_64:
	v_mad_u64_u32 v[10:11], null, v17, s22, 0
	s_delay_alu instid0(VALU_DEP_1) | instskip(NEXT) | instid1(VALU_DEP_1)
	v_mad_u64_u32 v[24:25], null, v17, s23, v[11:12]
	v_mov_b32_e32 v11, v24
	s_delay_alu instid0(VALU_DEP_1) | instskip(NEXT) | instid1(VALU_DEP_1)
	v_lshlrev_b64 v[10:11], 2, v[10:11]
	v_add_co_u32 v10, vcc_lo, v14, v10
	s_delay_alu instid0(VALU_DEP_2) | instskip(NEXT) | instid1(VALU_DEP_2)
	v_add_co_ci_u32_e32 v11, vcc_lo, v15, v11, vcc_lo
	v_add_co_u32 v10, vcc_lo, 0x100, v10
	s_delay_alu instid0(VALU_DEP_2)
	v_add_co_ci_u32_e32 v11, vcc_lo, 0, v11, vcc_lo
.LBB16_65:
	global_load_b32 v10, v[10:11], off
	s_waitcnt vmcnt(0)
	v_cmp_neq_f32_e32 vcc_lo, 0, v10
	v_cndmask_b32_e64 v10, 0, 1, vcc_lo
	s_delay_alu instid0(VALU_DEP_1)
	v_add_co_u32 v2, vcc_lo, v2, v10
	v_add_co_ci_u32_e32 v3, vcc_lo, 0, v3, vcc_lo
.LBB16_66:
	s_or_b32 exec_lo, exec_lo, s3
	v_or_b32_e32 v17, 2, v16
	s_mov_b32 s3, exec_lo
	s_delay_alu instid0(VALU_DEP_1)
	v_cmpx_gt_i32_e64 s18, v17
	s_cbranch_execz .LBB16_72
; %bb.67:
	s_and_not1_b32 vcc_lo, exec_lo, s0
	s_cbranch_vccnz .LBB16_69
; %bb.68:
	v_add_co_u32 v10, vcc_lo, v8, 8
	v_add_co_ci_u32_e32 v11, vcc_lo, 0, v9, vcc_lo
	s_cbranch_execz .LBB16_70
	s_branch .LBB16_71
.LBB16_69:
                                        ; implicit-def: $vgpr10_vgpr11
.LBB16_70:
	v_mad_u64_u32 v[10:11], null, v17, s22, 0
	s_delay_alu instid0(VALU_DEP_1) | instskip(NEXT) | instid1(VALU_DEP_1)
	v_mad_u64_u32 v[24:25], null, v17, s23, v[11:12]
	v_mov_b32_e32 v11, v24
	s_delay_alu instid0(VALU_DEP_1) | instskip(NEXT) | instid1(VALU_DEP_1)
	v_lshlrev_b64 v[10:11], 2, v[10:11]
	v_add_co_u32 v10, vcc_lo, v14, v10
	s_delay_alu instid0(VALU_DEP_2) | instskip(NEXT) | instid1(VALU_DEP_2)
	v_add_co_ci_u32_e32 v11, vcc_lo, v15, v11, vcc_lo
	v_add_co_u32 v10, vcc_lo, 0x100, v10
	s_delay_alu instid0(VALU_DEP_2)
	v_add_co_ci_u32_e32 v11, vcc_lo, 0, v11, vcc_lo
.LBB16_71:
	global_load_b32 v10, v[10:11], off
	s_waitcnt vmcnt(0)
	v_cmp_neq_f32_e32 vcc_lo, 0, v10
	v_cndmask_b32_e64 v10, 0, 1, vcc_lo
	s_delay_alu instid0(VALU_DEP_1)
	v_add_co_u32 v2, vcc_lo, v2, v10
	v_add_co_ci_u32_e32 v3, vcc_lo, 0, v3, vcc_lo
.LBB16_72:
	s_or_b32 exec_lo, exec_lo, s3
	v_or_b32_e32 v10, 3, v16
	s_mov_b32 s3, exec_lo
	s_delay_alu instid0(VALU_DEP_1)
	v_cmpx_gt_i32_e64 s18, v10
	s_cbranch_execz .LBB16_78
; %bb.73:
	s_and_not1_b32 vcc_lo, exec_lo, s0
	s_cbranch_vccnz .LBB16_75
; %bb.74:
	v_add_co_u32 v8, vcc_lo, v8, 12
	v_add_co_ci_u32_e32 v9, vcc_lo, 0, v9, vcc_lo
	s_cbranch_execz .LBB16_76
	s_branch .LBB16_77
.LBB16_75:
                                        ; implicit-def: $vgpr8_vgpr9
.LBB16_76:
	v_mad_u64_u32 v[8:9], null, v10, s22, 0
	s_delay_alu instid0(VALU_DEP_1) | instskip(NEXT) | instid1(VALU_DEP_1)
	v_mad_u64_u32 v[24:25], null, v10, s23, v[9:10]
	v_mov_b32_e32 v9, v24
	s_delay_alu instid0(VALU_DEP_1) | instskip(NEXT) | instid1(VALU_DEP_1)
	v_lshlrev_b64 v[8:9], 2, v[8:9]
	v_add_co_u32 v8, vcc_lo, v14, v8
	s_delay_alu instid0(VALU_DEP_2) | instskip(NEXT) | instid1(VALU_DEP_2)
	v_add_co_ci_u32_e32 v9, vcc_lo, v15, v9, vcc_lo
	v_add_co_u32 v8, vcc_lo, 0x100, v8
	s_delay_alu instid0(VALU_DEP_2)
	v_add_co_ci_u32_e32 v9, vcc_lo, 0, v9, vcc_lo
.LBB16_77:
	global_load_b32 v8, v[8:9], off
	s_waitcnt vmcnt(0)
	v_cmp_neq_f32_e32 vcc_lo, 0, v8
	v_cndmask_b32_e64 v8, 0, 1, vcc_lo
	s_delay_alu instid0(VALU_DEP_1)
	v_add_co_u32 v2, vcc_lo, v2, v8
	v_add_co_ci_u32_e32 v3, vcc_lo, 0, v3, vcc_lo
.LBB16_78:
	s_or_b32 exec_lo, exec_lo, s3
	s_delay_alu instid0(SALU_CYCLE_1) | instskip(NEXT) | instid1(SALU_CYCLE_1)
	s_or_b32 exec_lo, exec_lo, s2
	s_mov_b32 s2, exec_lo
	v_cmpx_gt_i32_e64 s17, v23
	s_cbranch_execz .LBB16_32
.LBB16_79:
	v_ashrrev_i32_e32 v10, 31, v23
	v_mul_lo_u32 v11, v23, s23
	v_mad_u64_u32 v[8:9], null, v23, s22, 0
	s_mov_b32 s3, exec_lo
	s_delay_alu instid0(VALU_DEP_3) | instskip(NEXT) | instid1(VALU_DEP_1)
	v_mul_lo_u32 v10, v10, s22
	v_add3_u32 v9, v9, v11, v10
	v_lshlrev_b64 v[10:11], 2, v[18:19]
	s_delay_alu instid0(VALU_DEP_2) | instskip(NEXT) | instid1(VALU_DEP_2)
	v_lshlrev_b64 v[8:9], 2, v[8:9]
	v_add_co_u32 v14, vcc_lo, s20, v10
	s_delay_alu instid0(VALU_DEP_3) | instskip(NEXT) | instid1(VALU_DEP_3)
	v_add_co_ci_u32_e32 v15, vcc_lo, s21, v11, vcc_lo
	v_add_co_u32 v8, vcc_lo, v12, v8
	s_delay_alu instid0(VALU_DEP_4)
	v_add_co_ci_u32_e32 v9, vcc_lo, v13, v9, vcc_lo
	v_cmpx_gt_i32_e64 s18, v16
	s_cbranch_execz .LBB16_83
; %bb.80:
	s_delay_alu instid0(VALU_DEP_2)
	v_dual_mov_b32 v11, v9 :: v_dual_mov_b32 v10, v8
	s_and_not1_b32 vcc_lo, exec_lo, s1
	s_cbranch_vccnz .LBB16_82
; %bb.81:
	v_mad_u64_u32 v[10:11], null, v16, s22, 0
	s_delay_alu instid0(VALU_DEP_1) | instskip(NEXT) | instid1(VALU_DEP_1)
	v_mad_u64_u32 v[23:24], null, v16, s23, v[11:12]
	v_mov_b32_e32 v11, v23
	s_delay_alu instid0(VALU_DEP_1) | instskip(NEXT) | instid1(VALU_DEP_1)
	v_lshlrev_b64 v[10:11], 2, v[10:11]
	v_add_co_u32 v10, vcc_lo, v14, v10
	s_delay_alu instid0(VALU_DEP_2) | instskip(NEXT) | instid1(VALU_DEP_2)
	v_add_co_ci_u32_e32 v11, vcc_lo, v15, v11, vcc_lo
	v_add_co_u32 v10, vcc_lo, 0x200, v10
	s_delay_alu instid0(VALU_DEP_2)
	v_add_co_ci_u32_e32 v11, vcc_lo, 0, v11, vcc_lo
.LBB16_82:
	global_load_b32 v10, v[10:11], off
	s_waitcnt vmcnt(0)
	v_cmp_neq_f32_e32 vcc_lo, 0, v10
	v_cndmask_b32_e64 v10, 0, 1, vcc_lo
	s_delay_alu instid0(VALU_DEP_1)
	v_add_co_u32 v4, vcc_lo, v4, v10
	v_add_co_ci_u32_e32 v5, vcc_lo, 0, v5, vcc_lo
.LBB16_83:
	s_or_b32 exec_lo, exec_lo, s3
	v_or_b32_e32 v17, 1, v16
	s_mov_b32 s3, exec_lo
	s_delay_alu instid0(VALU_DEP_1)
	v_cmpx_gt_i32_e64 s18, v17
	s_cbranch_execz .LBB16_89
; %bb.84:
	s_and_not1_b32 vcc_lo, exec_lo, s0
	s_cbranch_vccnz .LBB16_86
; %bb.85:
	v_add_co_u32 v10, vcc_lo, v8, 4
	v_add_co_ci_u32_e32 v11, vcc_lo, 0, v9, vcc_lo
	s_cbranch_execz .LBB16_87
	s_branch .LBB16_88
.LBB16_86:
                                        ; implicit-def: $vgpr10_vgpr11
.LBB16_87:
	v_mad_u64_u32 v[10:11], null, v17, s22, 0
	s_delay_alu instid0(VALU_DEP_1) | instskip(NEXT) | instid1(VALU_DEP_1)
	v_mad_u64_u32 v[23:24], null, v17, s23, v[11:12]
	v_mov_b32_e32 v11, v23
	s_delay_alu instid0(VALU_DEP_1) | instskip(NEXT) | instid1(VALU_DEP_1)
	v_lshlrev_b64 v[10:11], 2, v[10:11]
	v_add_co_u32 v10, vcc_lo, v14, v10
	s_delay_alu instid0(VALU_DEP_2) | instskip(NEXT) | instid1(VALU_DEP_2)
	v_add_co_ci_u32_e32 v11, vcc_lo, v15, v11, vcc_lo
	v_add_co_u32 v10, vcc_lo, 0x200, v10
	s_delay_alu instid0(VALU_DEP_2)
	v_add_co_ci_u32_e32 v11, vcc_lo, 0, v11, vcc_lo
.LBB16_88:
	global_load_b32 v10, v[10:11], off
	s_waitcnt vmcnt(0)
	v_cmp_neq_f32_e32 vcc_lo, 0, v10
	v_cndmask_b32_e64 v10, 0, 1, vcc_lo
	s_delay_alu instid0(VALU_DEP_1)
	v_add_co_u32 v4, vcc_lo, v4, v10
	v_add_co_ci_u32_e32 v5, vcc_lo, 0, v5, vcc_lo
.LBB16_89:
	s_or_b32 exec_lo, exec_lo, s3
	v_or_b32_e32 v17, 2, v16
	s_mov_b32 s3, exec_lo
	s_delay_alu instid0(VALU_DEP_1)
	v_cmpx_gt_i32_e64 s18, v17
	s_cbranch_execz .LBB16_95
; %bb.90:
	s_and_not1_b32 vcc_lo, exec_lo, s0
	s_cbranch_vccnz .LBB16_92
; %bb.91:
	v_add_co_u32 v10, vcc_lo, v8, 8
	v_add_co_ci_u32_e32 v11, vcc_lo, 0, v9, vcc_lo
	s_cbranch_execz .LBB16_93
	s_branch .LBB16_94
.LBB16_92:
                                        ; implicit-def: $vgpr10_vgpr11
.LBB16_93:
	v_mad_u64_u32 v[10:11], null, v17, s22, 0
	s_delay_alu instid0(VALU_DEP_1) | instskip(NEXT) | instid1(VALU_DEP_1)
	v_mad_u64_u32 v[23:24], null, v17, s23, v[11:12]
	v_mov_b32_e32 v11, v23
	s_delay_alu instid0(VALU_DEP_1) | instskip(NEXT) | instid1(VALU_DEP_1)
	v_lshlrev_b64 v[10:11], 2, v[10:11]
	v_add_co_u32 v10, vcc_lo, v14, v10
	s_delay_alu instid0(VALU_DEP_2) | instskip(NEXT) | instid1(VALU_DEP_2)
	v_add_co_ci_u32_e32 v11, vcc_lo, v15, v11, vcc_lo
	v_add_co_u32 v10, vcc_lo, 0x200, v10
	s_delay_alu instid0(VALU_DEP_2)
	v_add_co_ci_u32_e32 v11, vcc_lo, 0, v11, vcc_lo
.LBB16_94:
	global_load_b32 v10, v[10:11], off
	s_waitcnt vmcnt(0)
	v_cmp_neq_f32_e32 vcc_lo, 0, v10
	v_cndmask_b32_e64 v10, 0, 1, vcc_lo
	s_delay_alu instid0(VALU_DEP_1)
	v_add_co_u32 v4, vcc_lo, v4, v10
	v_add_co_ci_u32_e32 v5, vcc_lo, 0, v5, vcc_lo
.LBB16_95:
	s_or_b32 exec_lo, exec_lo, s3
	v_or_b32_e32 v10, 3, v16
	s_mov_b32 s3, exec_lo
	s_delay_alu instid0(VALU_DEP_1)
	v_cmpx_gt_i32_e64 s18, v10
	s_cbranch_execz .LBB16_101
; %bb.96:
	s_and_not1_b32 vcc_lo, exec_lo, s0
	s_cbranch_vccnz .LBB16_98
; %bb.97:
	v_add_co_u32 v8, vcc_lo, v8, 12
	v_add_co_ci_u32_e32 v9, vcc_lo, 0, v9, vcc_lo
	s_cbranch_execz .LBB16_99
	s_branch .LBB16_100
.LBB16_98:
                                        ; implicit-def: $vgpr8_vgpr9
.LBB16_99:
	v_mad_u64_u32 v[8:9], null, v10, s22, 0
	s_delay_alu instid0(VALU_DEP_1) | instskip(NEXT) | instid1(VALU_DEP_1)
	v_mad_u64_u32 v[23:24], null, v10, s23, v[9:10]
	v_mov_b32_e32 v9, v23
	s_delay_alu instid0(VALU_DEP_1) | instskip(NEXT) | instid1(VALU_DEP_1)
	v_lshlrev_b64 v[8:9], 2, v[8:9]
	v_add_co_u32 v8, vcc_lo, v14, v8
	s_delay_alu instid0(VALU_DEP_2) | instskip(NEXT) | instid1(VALU_DEP_2)
	v_add_co_ci_u32_e32 v9, vcc_lo, v15, v9, vcc_lo
	v_add_co_u32 v8, vcc_lo, 0x200, v8
	s_delay_alu instid0(VALU_DEP_2)
	v_add_co_ci_u32_e32 v9, vcc_lo, 0, v9, vcc_lo
.LBB16_100:
	global_load_b32 v8, v[8:9], off
	s_waitcnt vmcnt(0)
	v_cmp_neq_f32_e32 vcc_lo, 0, v8
	v_cndmask_b32_e64 v8, 0, 1, vcc_lo
	s_delay_alu instid0(VALU_DEP_1)
	v_add_co_u32 v4, vcc_lo, v4, v8
	v_add_co_ci_u32_e32 v5, vcc_lo, 0, v5, vcc_lo
.LBB16_101:
	s_or_b32 exec_lo, exec_lo, s3
	s_delay_alu instid0(SALU_CYCLE_1) | instskip(NEXT) | instid1(SALU_CYCLE_1)
	s_or_b32 exec_lo, exec_lo, s2
	s_mov_b32 s2, exec_lo
	v_cmpx_gt_i32_e64 s17, v22
	s_cbranch_execz .LBB16_125
.LBB16_102:
	v_ashrrev_i32_e32 v10, 31, v22
	v_mul_lo_u32 v11, v22, s23
	v_mad_u64_u32 v[8:9], null, v22, s22, 0
	s_mov_b32 s3, exec_lo
	s_delay_alu instid0(VALU_DEP_3) | instskip(NEXT) | instid1(VALU_DEP_1)
	v_mul_lo_u32 v10, v10, s22
	v_add3_u32 v9, v9, v11, v10
	v_lshlrev_b64 v[10:11], 2, v[18:19]
	s_delay_alu instid0(VALU_DEP_2) | instskip(NEXT) | instid1(VALU_DEP_2)
	v_lshlrev_b64 v[8:9], 2, v[8:9]
	v_add_co_u32 v14, vcc_lo, s20, v10
	s_delay_alu instid0(VALU_DEP_3) | instskip(NEXT) | instid1(VALU_DEP_3)
	v_add_co_ci_u32_e32 v15, vcc_lo, s21, v11, vcc_lo
	v_add_co_u32 v8, vcc_lo, v12, v8
	s_delay_alu instid0(VALU_DEP_4)
	v_add_co_ci_u32_e32 v9, vcc_lo, v13, v9, vcc_lo
	v_cmpx_gt_i32_e64 s18, v16
	s_cbranch_execz .LBB16_106
; %bb.103:
	s_delay_alu instid0(VALU_DEP_2)
	v_dual_mov_b32 v11, v9 :: v_dual_mov_b32 v10, v8
	s_and_not1_b32 vcc_lo, exec_lo, s1
	s_cbranch_vccnz .LBB16_105
; %bb.104:
	v_mad_u64_u32 v[10:11], null, v16, s22, 0
	s_delay_alu instid0(VALU_DEP_1) | instskip(NEXT) | instid1(VALU_DEP_1)
	v_mad_u64_u32 v[12:13], null, v16, s23, v[11:12]
	v_mov_b32_e32 v11, v12
	s_delay_alu instid0(VALU_DEP_1) | instskip(NEXT) | instid1(VALU_DEP_1)
	v_lshlrev_b64 v[10:11], 2, v[10:11]
	v_add_co_u32 v10, vcc_lo, v14, v10
	s_delay_alu instid0(VALU_DEP_2) | instskip(NEXT) | instid1(VALU_DEP_2)
	v_add_co_ci_u32_e32 v11, vcc_lo, v15, v11, vcc_lo
	v_add_co_u32 v10, vcc_lo, 0x300, v10
	s_delay_alu instid0(VALU_DEP_2)
	v_add_co_ci_u32_e32 v11, vcc_lo, 0, v11, vcc_lo
.LBB16_105:
	global_load_b32 v10, v[10:11], off
	s_waitcnt vmcnt(0)
	v_cmp_neq_f32_e32 vcc_lo, 0, v10
	v_cndmask_b32_e64 v10, 0, 1, vcc_lo
	s_delay_alu instid0(VALU_DEP_1)
	v_add_co_u32 v6, vcc_lo, v6, v10
	v_add_co_ci_u32_e32 v7, vcc_lo, 0, v7, vcc_lo
.LBB16_106:
	s_or_b32 exec_lo, exec_lo, s3
	v_or_b32_e32 v13, 1, v16
	v_cndmask_b32_e64 v12, 0, 1, s0
	s_mov_b32 s1, exec_lo
	s_delay_alu instid0(VALU_DEP_2)
	v_cmpx_gt_i32_e64 s18, v13
	s_cbranch_execz .LBB16_112
; %bb.107:
	s_and_not1_b32 vcc_lo, exec_lo, s0
	s_cbranch_vccnz .LBB16_109
; %bb.108:
	v_add_co_u32 v10, vcc_lo, v8, 4
	v_add_co_ci_u32_e32 v11, vcc_lo, 0, v9, vcc_lo
	s_cbranch_execz .LBB16_110
	s_branch .LBB16_111
.LBB16_109:
                                        ; implicit-def: $vgpr10_vgpr11
.LBB16_110:
	v_mad_u64_u32 v[10:11], null, v13, s22, 0
	s_delay_alu instid0(VALU_DEP_1) | instskip(NEXT) | instid1(VALU_DEP_1)
	v_mad_u64_u32 v[17:18], null, v13, s23, v[11:12]
	v_mov_b32_e32 v11, v17
	s_delay_alu instid0(VALU_DEP_1) | instskip(NEXT) | instid1(VALU_DEP_1)
	v_lshlrev_b64 v[10:11], 2, v[10:11]
	v_add_co_u32 v10, vcc_lo, v14, v10
	s_delay_alu instid0(VALU_DEP_2) | instskip(NEXT) | instid1(VALU_DEP_2)
	v_add_co_ci_u32_e32 v11, vcc_lo, v15, v11, vcc_lo
	v_add_co_u32 v10, vcc_lo, 0x300, v10
	s_delay_alu instid0(VALU_DEP_2)
	v_add_co_ci_u32_e32 v11, vcc_lo, 0, v11, vcc_lo
.LBB16_111:
	global_load_b32 v10, v[10:11], off
	s_waitcnt vmcnt(0)
	v_cmp_neq_f32_e32 vcc_lo, 0, v10
	v_cndmask_b32_e64 v10, 0, 1, vcc_lo
	s_delay_alu instid0(VALU_DEP_1)
	v_add_co_u32 v6, vcc_lo, v6, v10
	v_add_co_ci_u32_e32 v7, vcc_lo, 0, v7, vcc_lo
.LBB16_112:
	s_or_b32 exec_lo, exec_lo, s1
	v_or_b32_e32 v13, 2, v16
	s_mov_b32 s0, exec_lo
	s_delay_alu instid0(VALU_DEP_1)
	v_cmpx_gt_i32_e64 s18, v13
	s_cbranch_execz .LBB16_118
; %bb.113:
	v_cmp_ne_u32_e32 vcc_lo, 1, v12
	s_cbranch_vccnz .LBB16_115
; %bb.114:
	v_add_co_u32 v10, vcc_lo, v8, 8
	v_add_co_ci_u32_e32 v11, vcc_lo, 0, v9, vcc_lo
	s_cbranch_execz .LBB16_116
	s_branch .LBB16_117
.LBB16_115:
                                        ; implicit-def: $vgpr10_vgpr11
.LBB16_116:
	v_mad_u64_u32 v[10:11], null, v13, s22, 0
	s_delay_alu instid0(VALU_DEP_1) | instskip(NEXT) | instid1(VALU_DEP_1)
	v_mad_u64_u32 v[17:18], null, v13, s23, v[11:12]
	v_mov_b32_e32 v11, v17
	s_delay_alu instid0(VALU_DEP_1) | instskip(NEXT) | instid1(VALU_DEP_1)
	v_lshlrev_b64 v[10:11], 2, v[10:11]
	v_add_co_u32 v10, vcc_lo, v14, v10
	s_delay_alu instid0(VALU_DEP_2) | instskip(NEXT) | instid1(VALU_DEP_2)
	v_add_co_ci_u32_e32 v11, vcc_lo, v15, v11, vcc_lo
	v_add_co_u32 v10, vcc_lo, 0x300, v10
	s_delay_alu instid0(VALU_DEP_2)
	v_add_co_ci_u32_e32 v11, vcc_lo, 0, v11, vcc_lo
.LBB16_117:
	global_load_b32 v10, v[10:11], off
	s_waitcnt vmcnt(0)
	v_cmp_neq_f32_e32 vcc_lo, 0, v10
	v_cndmask_b32_e64 v10, 0, 1, vcc_lo
	s_delay_alu instid0(VALU_DEP_1)
	v_add_co_u32 v6, vcc_lo, v6, v10
	v_add_co_ci_u32_e32 v7, vcc_lo, 0, v7, vcc_lo
.LBB16_118:
	s_or_b32 exec_lo, exec_lo, s0
	v_or_b32_e32 v10, 3, v16
	s_mov_b32 s0, exec_lo
	s_delay_alu instid0(VALU_DEP_1)
	v_cmpx_gt_i32_e64 s18, v10
	s_cbranch_execz .LBB16_124
; %bb.119:
	v_cmp_ne_u32_e32 vcc_lo, 1, v12
	s_cbranch_vccnz .LBB16_121
; %bb.120:
	v_add_co_u32 v8, vcc_lo, v8, 12
	v_add_co_ci_u32_e32 v9, vcc_lo, 0, v9, vcc_lo
	s_cbranch_execz .LBB16_122
	s_branch .LBB16_123
.LBB16_121:
                                        ; implicit-def: $vgpr8_vgpr9
.LBB16_122:
	v_mad_u64_u32 v[8:9], null, v10, s22, 0
	s_delay_alu instid0(VALU_DEP_1) | instskip(NEXT) | instid1(VALU_DEP_1)
	v_mad_u64_u32 v[11:12], null, v10, s23, v[9:10]
	v_mov_b32_e32 v9, v11
	s_delay_alu instid0(VALU_DEP_1) | instskip(NEXT) | instid1(VALU_DEP_1)
	v_lshlrev_b64 v[8:9], 2, v[8:9]
	v_add_co_u32 v8, vcc_lo, v14, v8
	s_delay_alu instid0(VALU_DEP_2) | instskip(NEXT) | instid1(VALU_DEP_2)
	v_add_co_ci_u32_e32 v9, vcc_lo, v15, v9, vcc_lo
	v_add_co_u32 v8, vcc_lo, 0x300, v8
	s_delay_alu instid0(VALU_DEP_2)
	v_add_co_ci_u32_e32 v9, vcc_lo, 0, v9, vcc_lo
.LBB16_123:
	global_load_b32 v8, v[8:9], off
	s_waitcnt vmcnt(0)
	v_cmp_neq_f32_e32 vcc_lo, 0, v8
	v_cndmask_b32_e64 v8, 0, 1, vcc_lo
	s_delay_alu instid0(VALU_DEP_1)
	v_add_co_u32 v6, vcc_lo, v6, v8
	v_add_co_ci_u32_e32 v7, vcc_lo, 0, v7, vcc_lo
.LBB16_124:
	s_or_b32 exec_lo, exec_lo, s0
.LBB16_125:
	s_delay_alu instid0(SALU_CYCLE_1)
	s_or_b32 exec_lo, exec_lo, s2
.LBB16_126:
	v_lshlrev_b32_e32 v8, 2, v20
	s_mov_b32 s0, exec_lo
	s_delay_alu instid0(VALU_DEP_1) | instskip(NEXT) | instid1(VALU_DEP_1)
	v_and_or_b32 v8, 0x1fffff00, v8, v21
	v_lshlrev_b32_e32 v8, 3, v8
	ds_store_2addr_stride64_b64 v8, v[0:1], v[2:3] offset1:1
	ds_store_2addr_stride64_b64 v8, v[4:5], v[6:7] offset0:2 offset1:3
	s_waitcnt lgkmcnt(0)
	s_barrier
	buffer_gl0_inv
	v_cmpx_gt_u32_e32 0x100, v20
	s_cbranch_execz .LBB16_129
; %bb.127:
	v_lshlrev_b32_e32 v12, 3, v20
	ds_load_2addr_stride64_b64 v[0:3], v12 offset1:4
	ds_load_2addr_stride64_b64 v[4:7], v12 offset0:8 offset1:12
	ds_load_2addr_stride64_b64 v[8:11], v12 offset0:16 offset1:20
	s_waitcnt lgkmcnt(2)
	v_add_co_u32 v13, vcc_lo, v0, v2
	v_add_co_ci_u32_e32 v14, vcc_lo, v1, v3, vcc_lo
	ds_load_2addr_stride64_b64 v[0:3], v12 offset0:24 offset1:28
	s_waitcnt lgkmcnt(2)
	v_add_co_u32 v4, vcc_lo, v13, v4
	v_add_co_ci_u32_e32 v5, vcc_lo, v14, v5, vcc_lo
	s_delay_alu instid0(VALU_DEP_2) | instskip(NEXT) | instid1(VALU_DEP_2)
	v_add_co_u32 v13, vcc_lo, v4, v6
	v_add_co_ci_u32_e32 v14, vcc_lo, v5, v7, vcc_lo
	ds_load_2addr_stride64_b64 v[4:7], v12 offset0:32 offset1:36
	s_waitcnt lgkmcnt(2)
	v_add_co_u32 v8, vcc_lo, v13, v8
	v_add_co_ci_u32_e32 v9, vcc_lo, v14, v9, vcc_lo
	s_delay_alu instid0(VALU_DEP_2) | instskip(NEXT) | instid1(VALU_DEP_2)
	;; [unrolled: 7-line block ×5, first 2 shown]
	v_add_co_u32 v8, vcc_lo, v8, v10
	v_add_co_ci_u32_e32 v9, vcc_lo, v9, v11, vcc_lo
	s_waitcnt lgkmcnt(1)
	s_delay_alu instid0(VALU_DEP_2) | instskip(NEXT) | instid1(VALU_DEP_2)
	v_add_co_u32 v0, vcc_lo, v8, v0
	v_add_co_ci_u32_e32 v1, vcc_lo, v9, v1, vcc_lo
	s_delay_alu instid0(VALU_DEP_2) | instskip(NEXT) | instid1(VALU_DEP_2)
	v_add_co_u32 v0, vcc_lo, v0, v2
	v_add_co_ci_u32_e32 v1, vcc_lo, v1, v3, vcc_lo
	v_add_nc_u32_e32 v2, s5, v20
	s_waitcnt lgkmcnt(0)
	s_delay_alu instid0(VALU_DEP_3) | instskip(NEXT) | instid1(VALU_DEP_3)
	v_add_co_u32 v0, vcc_lo, v0, v4
	v_add_co_ci_u32_e32 v1, vcc_lo, v1, v5, vcc_lo
	s_delay_alu instid0(VALU_DEP_2) | instskip(NEXT) | instid1(VALU_DEP_2)
	v_add_co_u32 v0, vcc_lo, v0, v6
	v_add_co_ci_u32_e32 v1, vcc_lo, v1, v7, vcc_lo
	v_cmp_gt_i32_e32 vcc_lo, s17, v2
	ds_store_b64 v12, v[0:1]
	s_and_b32 exec_lo, exec_lo, vcc_lo
	s_cbranch_execz .LBB16_129
; %bb.128:
	v_ashrrev_i32_e32 v3, 31, v2
	s_delay_alu instid0(VALU_DEP_1) | instskip(NEXT) | instid1(VALU_DEP_1)
	v_lshlrev_b64 v[2:3], 3, v[2:3]
	v_add_co_u32 v2, vcc_lo, s6, v2
	s_delay_alu instid0(VALU_DEP_2)
	v_add_co_ci_u32_e32 v3, vcc_lo, s7, v3, vcc_lo
	global_store_b64 v[2:3], v[0:1], off
.LBB16_129:
	s_nop 0
	s_sendmsg sendmsg(MSG_DEALLOC_VGPRS)
	s_endpgm
	.section	.rodata,"a",@progbits
	.p2align	6, 0x0
	.amdhsa_kernel _ZN9rocsparseL14nnz_kernel_rowILi64ELi16ElifEEv16rocsparse_order_T2_S2_PKT3_lPT1_
		.amdhsa_group_segment_fixed_size 32768
		.amdhsa_private_segment_fixed_size 0
		.amdhsa_kernarg_size 296
		.amdhsa_user_sgpr_count 15
		.amdhsa_user_sgpr_dispatch_ptr 0
		.amdhsa_user_sgpr_queue_ptr 0
		.amdhsa_user_sgpr_kernarg_segment_ptr 1
		.amdhsa_user_sgpr_dispatch_id 0
		.amdhsa_user_sgpr_private_segment_size 0
		.amdhsa_wavefront_size32 1
		.amdhsa_uses_dynamic_stack 0
		.amdhsa_enable_private_segment 0
		.amdhsa_system_sgpr_workgroup_id_x 1
		.amdhsa_system_sgpr_workgroup_id_y 0
		.amdhsa_system_sgpr_workgroup_id_z 0
		.amdhsa_system_sgpr_workgroup_info 0
		.amdhsa_system_vgpr_workitem_id 1
		.amdhsa_next_free_vgpr 41
		.amdhsa_next_free_sgpr 25
		.amdhsa_reserve_vcc 1
		.amdhsa_float_round_mode_32 0
		.amdhsa_float_round_mode_16_64 0
		.amdhsa_float_denorm_mode_32 3
		.amdhsa_float_denorm_mode_16_64 3
		.amdhsa_dx10_clamp 1
		.amdhsa_ieee_mode 1
		.amdhsa_fp16_overflow 0
		.amdhsa_workgroup_processor_mode 1
		.amdhsa_memory_ordered 1
		.amdhsa_forward_progress 0
		.amdhsa_shared_vgpr_count 0
		.amdhsa_exception_fp_ieee_invalid_op 0
		.amdhsa_exception_fp_denorm_src 0
		.amdhsa_exception_fp_ieee_div_zero 0
		.amdhsa_exception_fp_ieee_overflow 0
		.amdhsa_exception_fp_ieee_underflow 0
		.amdhsa_exception_fp_ieee_inexact 0
		.amdhsa_exception_int_div_zero 0
	.end_amdhsa_kernel
	.section	.text._ZN9rocsparseL14nnz_kernel_rowILi64ELi16ElifEEv16rocsparse_order_T2_S2_PKT3_lPT1_,"axG",@progbits,_ZN9rocsparseL14nnz_kernel_rowILi64ELi16ElifEEv16rocsparse_order_T2_S2_PKT3_lPT1_,comdat
.Lfunc_end16:
	.size	_ZN9rocsparseL14nnz_kernel_rowILi64ELi16ElifEEv16rocsparse_order_T2_S2_PKT3_lPT1_, .Lfunc_end16-_ZN9rocsparseL14nnz_kernel_rowILi64ELi16ElifEEv16rocsparse_order_T2_S2_PKT3_lPT1_
                                        ; -- End function
	.section	.AMDGPU.csdata,"",@progbits
; Kernel info:
; codeLenInByte = 6520
; NumSgprs: 27
; NumVgprs: 41
; ScratchSize: 0
; MemoryBound: 0
; FloatMode: 240
; IeeeMode: 1
; LDSByteSize: 32768 bytes/workgroup (compile time only)
; SGPRBlocks: 3
; VGPRBlocks: 5
; NumSGPRsForWavesPerEU: 27
; NumVGPRsForWavesPerEU: 41
; Occupancy: 16
; WaveLimiterHint : 0
; COMPUTE_PGM_RSRC2:SCRATCH_EN: 0
; COMPUTE_PGM_RSRC2:USER_SGPR: 15
; COMPUTE_PGM_RSRC2:TRAP_HANDLER: 0
; COMPUTE_PGM_RSRC2:TGID_X_EN: 1
; COMPUTE_PGM_RSRC2:TGID_Y_EN: 0
; COMPUTE_PGM_RSRC2:TGID_Z_EN: 0
; COMPUTE_PGM_RSRC2:TIDIG_COMP_CNT: 1
	.section	.text._ZN9rocsparseL14nnz_kernel_colILi256ElifEEv16rocsparse_order_T1_S2_PKT2_lPT0_,"axG",@progbits,_ZN9rocsparseL14nnz_kernel_colILi256ElifEEv16rocsparse_order_T1_S2_PKT2_lPT0_,comdat
	.globl	_ZN9rocsparseL14nnz_kernel_colILi256ElifEEv16rocsparse_order_T1_S2_PKT2_lPT0_ ; -- Begin function _ZN9rocsparseL14nnz_kernel_colILi256ElifEEv16rocsparse_order_T1_S2_PKT2_lPT0_
	.p2align	8
	.type	_ZN9rocsparseL14nnz_kernel_colILi256ElifEEv16rocsparse_order_T1_S2_PKT2_lPT0_,@function
_ZN9rocsparseL14nnz_kernel_colILi256ElifEEv16rocsparse_order_T1_S2_PKT2_lPT0_: ; @_ZN9rocsparseL14nnz_kernel_colILi256ElifEEv16rocsparse_order_T1_S2_PKT2_lPT0_
; %bb.0:
	s_clause 0x1
	s_load_b64 s[2:3], s[0:1], 0x0
	s_load_b128 s[4:7], s[0:1], 0x10
	s_mov_b32 s8, s15
	s_waitcnt lgkmcnt(0)
	s_ashr_i32 s9, s3, 31
	s_delay_alu instid0(SALU_CYCLE_1) | instskip(NEXT) | instid1(SALU_CYCLE_1)
	s_lshr_b32 s9, s9, 24
	s_add_i32 s9, s3, s9
	s_delay_alu instid0(SALU_CYCLE_1)
	s_and_b32 s10, s9, 0xffffff00
	s_cmp_eq_u32 s2, 1
	s_cbranch_scc1 .LBB17_6
; %bb.1:
	v_mov_b32_e32 v1, 0
	v_mov_b32_e32 v2, 0
	s_cmpk_lt_i32 s3, 0x100
	s_cbranch_scc1 .LBB17_7
; %bb.2:
	v_mad_u64_u32 v[1:2], null, s6, v0, 0
	s_ashr_i32 s9, s8, 31
	s_delay_alu instid0(SALU_CYCLE_1) | instskip(NEXT) | instid1(SALU_CYCLE_1)
	s_lshl_b64 s[12:13], s[8:9], 2
	s_add_u32 s2, s4, s12
	s_addc_u32 s9, s5, s13
	s_delay_alu instid0(VALU_DEP_1) | instskip(SKIP_1) | instid1(VALU_DEP_1)
	v_mad_u64_u32 v[3:4], null, s7, v0, v[2:3]
	s_lshl_b64 s[12:13], s[6:7], 10
	v_mov_b32_e32 v2, v3
	s_delay_alu instid0(VALU_DEP_1) | instskip(SKIP_2) | instid1(VALU_DEP_3)
	v_lshlrev_b64 v[3:4], 2, v[1:2]
	v_mov_b32_e32 v1, 0
	v_mov_b32_e32 v2, 0
	v_add_co_u32 v3, vcc_lo, s2, v3
	s_delay_alu instid0(VALU_DEP_4)
	v_add_co_ci_u32_e32 v4, vcc_lo, s9, v4, vcc_lo
	s_mov_b32 s2, 0
	s_branch .LBB17_4
	.p2align	6
.LBB17_3:                               ;   in Loop: Header=BB17_4 Depth=1
	s_or_b32 exec_lo, exec_lo, s9
	v_add_co_u32 v3, vcc_lo, v3, s12
	v_add_co_ci_u32_e32 v4, vcc_lo, s13, v4, vcc_lo
	s_addk_i32 s2, 0x100
	s_delay_alu instid0(SALU_CYCLE_1)
	s_cmp_ge_i32 s2, s10
	s_cbranch_scc1 .LBB17_7
.LBB17_4:                               ; =>This Inner Loop Header: Depth=1
	v_add_nc_u32_e32 v5, s2, v0
	s_mov_b32 s9, exec_lo
	s_delay_alu instid0(VALU_DEP_1)
	v_cmpx_gt_i32_e64 s3, v5
	s_cbranch_execz .LBB17_3
; %bb.5:                                ;   in Loop: Header=BB17_4 Depth=1
	global_load_b32 v5, v[3:4], off
	s_waitcnt vmcnt(0)
	v_cmp_neq_f32_e32 vcc_lo, 0, v5
	v_cndmask_b32_e64 v5, 0, 1, vcc_lo
	s_delay_alu instid0(VALU_DEP_1)
	v_add_co_u32 v1, vcc_lo, v1, v5
	v_add_co_ci_u32_e32 v2, vcc_lo, 0, v2, vcc_lo
	s_branch .LBB17_3
.LBB17_6:
	s_mov_b32 s12, 0
                                        ; implicit-def: $vgpr1_vgpr2
                                        ; implicit-def: $vgpr3_vgpr4
	s_cbranch_execnz .LBB17_10
	s_branch .LBB17_16
.LBB17_7:
	v_add_nc_u32_e32 v5, s10, v0
	s_mov_b32 s2, 0
	s_mov_b32 s12, 0
                                        ; implicit-def: $vgpr3_vgpr4
	s_mov_b32 s9, exec_lo
	s_delay_alu instid0(VALU_DEP_1)
	v_cmpx_gt_i32_e64 s3, v5
	s_xor_b32 s11, exec_lo, s9
	s_cbranch_execz .LBB17_9
; %bb.8:
	v_ashrrev_i32_e32 v6, 31, v5
	v_mul_lo_u32 v7, v5, s7
	v_mad_u64_u32 v[3:4], null, v5, s6, 0
	s_ashr_i32 s9, s8, 31
	s_delay_alu instid0(VALU_DEP_3) | instskip(SKIP_4) | instid1(VALU_DEP_1)
	v_mul_lo_u32 v5, v6, s6
	s_lshl_b64 s[14:15], s[8:9], 2
	s_mov_b32 s12, exec_lo
	s_add_u32 s9, s14, s4
	s_addc_u32 s13, s15, s5
	v_add3_u32 v4, v4, v7, v5
	s_delay_alu instid0(VALU_DEP_1) | instskip(NEXT) | instid1(VALU_DEP_1)
	v_lshlrev_b64 v[3:4], 2, v[3:4]
	v_add_co_u32 v3, vcc_lo, s9, v3
	s_delay_alu instid0(VALU_DEP_2)
	v_add_co_ci_u32_e32 v4, vcc_lo, s13, v4, vcc_lo
.LBB17_9:
	s_or_b32 exec_lo, exec_lo, s11
	s_delay_alu instid0(SALU_CYCLE_1)
	s_and_b32 vcc_lo, exec_lo, s2
	s_cbranch_vccz .LBB17_16
.LBB17_10:
	v_cmp_gt_i32_e32 vcc_lo, s3, v0
	s_mul_i32 s2, s8, s7
	s_mul_hi_u32 s7, s8, s6
	s_ashr_i32 s9, s8, 31
	s_add_i32 s2, s7, s2
	v_cndmask_b32_e32 v1, 0, v0, vcc_lo
	s_mul_i32 s9, s9, s6
	s_mul_i32 s6, s8, s6
	s_add_i32 s7, s2, s9
	s_delay_alu instid0(SALU_CYCLE_1)
	s_lshl_b64 s[6:7], s[6:7], 2
	v_lshlrev_b32_e32 v3, 2, v1
	s_add_u32 s2, s4, s6
	v_mov_b32_e32 v1, 0
	v_mov_b32_e32 v2, 0
	s_addc_u32 s4, s5, s7
	v_add_co_u32 v5, s2, s2, v3
	s_delay_alu instid0(VALU_DEP_1)
	v_add_co_ci_u32_e64 v6, null, s4, 0, s2
	s_cmpk_lt_i32 s3, 0x100
	s_mov_b32 s4, 0
	s_cbranch_scc1 .LBB17_13
; %bb.11:
	v_mov_b32_e32 v1, 0
	v_dual_mov_b32 v2, 0 :: v_dual_mov_b32 v3, v5
	v_mov_b32_e32 v4, v6
.LBB17_12:                              ; =>This Inner Loop Header: Depth=1
	global_load_b32 v7, v[3:4], off
	v_add_co_u32 v3, vcc_lo, 0x400, v3
	v_add_co_ci_u32_e32 v4, vcc_lo, 0, v4, vcc_lo
	s_addk_i32 s4, 0x100
	s_delay_alu instid0(SALU_CYCLE_1) | instskip(SKIP_2) | instid1(VALU_DEP_1)
	s_cmp_ge_i32 s4, s10
	s_waitcnt vmcnt(0)
	v_cmp_neq_f32_e64 s2, 0, v7
	v_cndmask_b32_e64 v7, 0, 1, s2
	s_delay_alu instid0(VALU_DEP_1)
	v_add_co_u32 v1, vcc_lo, v1, v7
	v_add_co_ci_u32_e32 v2, vcc_lo, 0, v2, vcc_lo
	s_cbranch_scc0 .LBB17_12
.LBB17_13:
	v_add_nc_u32_e32 v3, s10, v0
	s_delay_alu instid0(VALU_DEP_1)
	v_cmp_gt_i32_e32 vcc_lo, s3, v3
                                        ; implicit-def: $vgpr3_vgpr4
	s_and_saveexec_b32 s2, vcc_lo
; %bb.14:
	s_ashr_i32 s11, s10, 31
	s_or_b32 s12, s12, exec_lo
	s_lshl_b64 s[4:5], s[10:11], 2
	s_delay_alu instid0(SALU_CYCLE_1)
	v_add_co_u32 v3, vcc_lo, v5, s4
	v_add_co_ci_u32_e32 v4, vcc_lo, s5, v6, vcc_lo
; %bb.15:
	s_or_b32 exec_lo, exec_lo, s2
.LBB17_16:
	s_and_saveexec_b32 s2, s12
	s_cbranch_execz .LBB17_18
; %bb.17:
	global_load_b32 v3, v[3:4], off
	s_waitcnt vmcnt(0)
	v_cmp_neq_f32_e32 vcc_lo, 0, v3
	v_cndmask_b32_e64 v3, 0, 1, vcc_lo
	s_delay_alu instid0(VALU_DEP_1)
	v_add_co_u32 v1, vcc_lo, v1, v3
	v_add_co_ci_u32_e32 v2, vcc_lo, 0, v2, vcc_lo
.LBB17_18:
	s_or_b32 exec_lo, exec_lo, s2
	v_lshlrev_b32_e32 v3, 3, v0
	v_cmp_eq_u32_e32 vcc_lo, 0, v0
	s_cmpk_lt_i32 s3, 0x100
	s_mov_b32 s2, -1
	ds_store_b64 v3, v[1:2]
	s_waitcnt lgkmcnt(0)
	s_cbranch_scc0 .LBB17_29
; %bb.19:
	s_cmp_gt_i32 s3, 1
	s_mov_b32 s4, 1
	s_cselect_b32 s2, -1, 0
	s_barrier
	s_and_b32 s5, vcc_lo, s2
	buffer_gl0_inv
	s_and_saveexec_b32 s2, s5
	s_cbranch_execz .LBB17_28
; %bb.20:
	v_mov_b32_e32 v1, 0
	s_add_i32 s5, s3, -2
	s_add_i32 s3, s3, -1
	s_cmp_lt_u32 s5, 7
	ds_load_b64 v[1:2], v1
	s_cbranch_scc1 .LBB17_24
; %bb.21:
	s_and_b32 s4, s3, -8
	s_mov_b32 s6, 0
	s_mov_b32 s5, 8
	s_set_inst_prefetch_distance 0x1
	.p2align	6
.LBB17_22:                              ; =>This Inner Loop Header: Depth=1
	v_mov_b32_e32 v16, s5
	s_mov_b32 s7, s6
	s_add_i32 s6, s6, 8
	s_add_i32 s5, s5, 64
	s_cmp_lg_u32 s4, s6
	ds_load_2addr_b64 v[4:7], v16 offset1:1
	ds_load_2addr_b64 v[8:11], v16 offset0:2 offset1:3
	ds_load_2addr_b64 v[12:15], v16 offset0:4 offset1:5
	s_waitcnt lgkmcnt(2)
	v_add_co_u32 v1, vcc_lo, v1, v4
	v_add_co_ci_u32_e32 v2, vcc_lo, v2, v5, vcc_lo
	s_delay_alu instid0(VALU_DEP_2) | instskip(NEXT) | instid1(VALU_DEP_2)
	v_add_co_u32 v1, vcc_lo, v1, v6
	v_add_co_ci_u32_e32 v2, vcc_lo, v2, v7, vcc_lo
	ds_load_2addr_b64 v[4:7], v16 offset0:6 offset1:7
	s_waitcnt lgkmcnt(2)
	v_add_co_u32 v1, vcc_lo, v1, v8
	v_add_co_ci_u32_e32 v2, vcc_lo, v2, v9, vcc_lo
	s_delay_alu instid0(VALU_DEP_2) | instskip(NEXT) | instid1(VALU_DEP_2)
	v_add_co_u32 v1, vcc_lo, v1, v10
	v_add_co_ci_u32_e32 v2, vcc_lo, v2, v11, vcc_lo
	s_waitcnt lgkmcnt(1)
	s_delay_alu instid0(VALU_DEP_2) | instskip(NEXT) | instid1(VALU_DEP_2)
	v_add_co_u32 v1, vcc_lo, v1, v12
	v_add_co_ci_u32_e32 v2, vcc_lo, v2, v13, vcc_lo
	s_delay_alu instid0(VALU_DEP_2) | instskip(NEXT) | instid1(VALU_DEP_2)
	v_add_co_u32 v1, vcc_lo, v1, v14
	v_add_co_ci_u32_e32 v2, vcc_lo, v2, v15, vcc_lo
	s_waitcnt lgkmcnt(0)
	s_delay_alu instid0(VALU_DEP_2) | instskip(NEXT) | instid1(VALU_DEP_2)
	v_add_co_u32 v1, vcc_lo, v1, v4
	v_add_co_ci_u32_e32 v2, vcc_lo, v2, v5, vcc_lo
	s_delay_alu instid0(VALU_DEP_2) | instskip(NEXT) | instid1(VALU_DEP_2)
	v_add_co_u32 v1, vcc_lo, v1, v6
	v_add_co_ci_u32_e32 v2, vcc_lo, v2, v7, vcc_lo
	s_cbranch_scc1 .LBB17_22
; %bb.23:
	s_set_inst_prefetch_distance 0x2
	s_add_i32 s4, s7, 9
.LBB17_24:
	s_and_b32 s3, s3, 7
	s_delay_alu instid0(SALU_CYCLE_1)
	s_cmp_eq_u32 s3, 0
	s_cbranch_scc1 .LBB17_27
; %bb.25:
	s_lshl_b32 s4, s4, 3
.LBB17_26:                              ; =>This Inner Loop Header: Depth=1
	s_delay_alu instid0(SALU_CYCLE_1)
	v_mov_b32_e32 v4, s4
	s_add_i32 s3, s3, -1
	s_add_i32 s4, s4, 8
	s_cmp_lg_u32 s3, 0
	ds_load_b64 v[4:5], v4
	s_waitcnt lgkmcnt(0)
	v_add_co_u32 v1, vcc_lo, v1, v4
	v_add_co_ci_u32_e32 v2, vcc_lo, v2, v5, vcc_lo
	s_cbranch_scc1 .LBB17_26
.LBB17_27:
	v_mov_b32_e32 v4, 0
	s_waitcnt lgkmcnt(0)
	ds_store_b64 v4, v[1:2]
.LBB17_28:
	s_or_b32 exec_lo, exec_lo, s2
	s_mov_b32 s2, 0
	s_waitcnt lgkmcnt(0)
	s_barrier
.LBB17_29:
	s_and_b32 vcc_lo, exec_lo, s2
	s_cbranch_vccz .LBB17_47
; %bb.30:
	s_mov_b32 s2, exec_lo
	s_barrier
	buffer_gl0_inv
	v_cmpx_gt_u32_e32 0x80, v0
	s_cbranch_execz .LBB17_32
; %bb.31:
	ds_load_2addr_stride64_b64 v[4:7], v3 offset1:2
	s_waitcnt lgkmcnt(0)
	v_add_co_u32 v1, vcc_lo, v4, v6
	v_add_co_ci_u32_e32 v2, vcc_lo, v5, v7, vcc_lo
	ds_store_b64 v3, v[1:2]
.LBB17_32:
	s_or_b32 exec_lo, exec_lo, s2
	s_delay_alu instid0(SALU_CYCLE_1)
	s_mov_b32 s2, exec_lo
	s_waitcnt lgkmcnt(0)
	s_barrier
	buffer_gl0_inv
	v_cmpx_gt_u32_e32 64, v0
	s_cbranch_execz .LBB17_34
; %bb.33:
	ds_load_2addr_stride64_b64 v[4:7], v3 offset1:1
	s_waitcnt lgkmcnt(0)
	v_add_co_u32 v1, vcc_lo, v4, v6
	v_add_co_ci_u32_e32 v2, vcc_lo, v5, v7, vcc_lo
	ds_store_b64 v3, v[1:2]
.LBB17_34:
	s_or_b32 exec_lo, exec_lo, s2
	s_delay_alu instid0(SALU_CYCLE_1)
	s_mov_b32 s2, exec_lo
	s_waitcnt lgkmcnt(0)
	s_barrier
	buffer_gl0_inv
	v_cmpx_gt_u32_e32 32, v0
	s_cbranch_execz .LBB17_36
; %bb.35:
	ds_load_2addr_b64 v[4:7], v3 offset1:32
	s_waitcnt lgkmcnt(0)
	v_add_co_u32 v1, vcc_lo, v4, v6
	v_add_co_ci_u32_e32 v2, vcc_lo, v5, v7, vcc_lo
	ds_store_b64 v3, v[1:2]
.LBB17_36:
	s_or_b32 exec_lo, exec_lo, s2
	s_delay_alu instid0(SALU_CYCLE_1)
	s_mov_b32 s2, exec_lo
	s_waitcnt lgkmcnt(0)
	s_barrier
	buffer_gl0_inv
	v_cmpx_gt_u32_e32 16, v0
	s_cbranch_execz .LBB17_38
; %bb.37:
	ds_load_2addr_b64 v[4:7], v3 offset1:16
	s_waitcnt lgkmcnt(0)
	v_add_co_u32 v1, vcc_lo, v4, v6
	v_add_co_ci_u32_e32 v2, vcc_lo, v5, v7, vcc_lo
	ds_store_b64 v3, v[1:2]
.LBB17_38:
	;; [unrolled: 15-line block ×5, first 2 shown]
	s_or_b32 exec_lo, exec_lo, s2
	s_delay_alu instid0(SALU_CYCLE_1)
	s_mov_b32 s2, exec_lo
	s_waitcnt lgkmcnt(0)
	s_barrier
	buffer_gl0_inv
	v_cmpx_eq_u32_e32 0, v0
	s_cbranch_execz .LBB17_46
; %bb.45:
	v_mov_b32_e32 v5, 0
	ds_load_b128 v[1:4], v5
	s_waitcnt lgkmcnt(0)
	v_add_co_u32 v1, vcc_lo, v1, v3
	v_add_co_ci_u32_e32 v2, vcc_lo, v2, v4, vcc_lo
	ds_store_b64 v5, v[1:2]
.LBB17_46:
	s_or_b32 exec_lo, exec_lo, s2
	s_waitcnt lgkmcnt(0)
	s_barrier
.LBB17_47:
	buffer_gl0_inv
	s_mov_b32 s2, exec_lo
	v_cmpx_eq_u32_e32 0, v0
	s_cbranch_execz .LBB17_49
; %bb.48:
	v_mov_b32_e32 v2, 0
	s_load_b64 s[0:1], s[0:1], 0x20
	s_ashr_i32 s9, s8, 31
	s_delay_alu instid0(SALU_CYCLE_1)
	s_lshl_b64 s[2:3], s[8:9], 3
	ds_load_b64 v[0:1], v2
	s_waitcnt lgkmcnt(0)
	s_add_u32 s0, s0, s2
	s_addc_u32 s1, s1, s3
	global_store_b64 v2, v[0:1], s[0:1]
.LBB17_49:
	s_nop 0
	s_sendmsg sendmsg(MSG_DEALLOC_VGPRS)
	s_endpgm
	.section	.rodata,"a",@progbits
	.p2align	6, 0x0
	.amdhsa_kernel _ZN9rocsparseL14nnz_kernel_colILi256ElifEEv16rocsparse_order_T1_S2_PKT2_lPT0_
		.amdhsa_group_segment_fixed_size 2048
		.amdhsa_private_segment_fixed_size 0
		.amdhsa_kernarg_size 40
		.amdhsa_user_sgpr_count 15
		.amdhsa_user_sgpr_dispatch_ptr 0
		.amdhsa_user_sgpr_queue_ptr 0
		.amdhsa_user_sgpr_kernarg_segment_ptr 1
		.amdhsa_user_sgpr_dispatch_id 0
		.amdhsa_user_sgpr_private_segment_size 0
		.amdhsa_wavefront_size32 1
		.amdhsa_uses_dynamic_stack 0
		.amdhsa_enable_private_segment 0
		.amdhsa_system_sgpr_workgroup_id_x 1
		.amdhsa_system_sgpr_workgroup_id_y 0
		.amdhsa_system_sgpr_workgroup_id_z 0
		.amdhsa_system_sgpr_workgroup_info 0
		.amdhsa_system_vgpr_workitem_id 0
		.amdhsa_next_free_vgpr 17
		.amdhsa_next_free_sgpr 16
		.amdhsa_reserve_vcc 1
		.amdhsa_float_round_mode_32 0
		.amdhsa_float_round_mode_16_64 0
		.amdhsa_float_denorm_mode_32 3
		.amdhsa_float_denorm_mode_16_64 3
		.amdhsa_dx10_clamp 1
		.amdhsa_ieee_mode 1
		.amdhsa_fp16_overflow 0
		.amdhsa_workgroup_processor_mode 1
		.amdhsa_memory_ordered 1
		.amdhsa_forward_progress 0
		.amdhsa_shared_vgpr_count 0
		.amdhsa_exception_fp_ieee_invalid_op 0
		.amdhsa_exception_fp_denorm_src 0
		.amdhsa_exception_fp_ieee_div_zero 0
		.amdhsa_exception_fp_ieee_overflow 0
		.amdhsa_exception_fp_ieee_underflow 0
		.amdhsa_exception_fp_ieee_inexact 0
		.amdhsa_exception_int_div_zero 0
	.end_amdhsa_kernel
	.section	.text._ZN9rocsparseL14nnz_kernel_colILi256ElifEEv16rocsparse_order_T1_S2_PKT2_lPT0_,"axG",@progbits,_ZN9rocsparseL14nnz_kernel_colILi256ElifEEv16rocsparse_order_T1_S2_PKT2_lPT0_,comdat
.Lfunc_end17:
	.size	_ZN9rocsparseL14nnz_kernel_colILi256ElifEEv16rocsparse_order_T1_S2_PKT2_lPT0_, .Lfunc_end17-_ZN9rocsparseL14nnz_kernel_colILi256ElifEEv16rocsparse_order_T1_S2_PKT2_lPT0_
                                        ; -- End function
	.section	.AMDGPU.csdata,"",@progbits
; Kernel info:
; codeLenInByte = 1768
; NumSgprs: 18
; NumVgprs: 17
; ScratchSize: 0
; MemoryBound: 0
; FloatMode: 240
; IeeeMode: 1
; LDSByteSize: 2048 bytes/workgroup (compile time only)
; SGPRBlocks: 2
; VGPRBlocks: 2
; NumSGPRsForWavesPerEU: 18
; NumVGPRsForWavesPerEU: 17
; Occupancy: 16
; WaveLimiterHint : 0
; COMPUTE_PGM_RSRC2:SCRATCH_EN: 0
; COMPUTE_PGM_RSRC2:USER_SGPR: 15
; COMPUTE_PGM_RSRC2:TRAP_HANDLER: 0
; COMPUTE_PGM_RSRC2:TGID_X_EN: 1
; COMPUTE_PGM_RSRC2:TGID_Y_EN: 0
; COMPUTE_PGM_RSRC2:TGID_Z_EN: 0
; COMPUTE_PGM_RSRC2:TIDIG_COMP_CNT: 0
	.section	.text._ZN9rocsparseL14nnz_kernel_rowILi64ELi16ElidEEv16rocsparse_order_T2_S2_PKT3_lPT1_,"axG",@progbits,_ZN9rocsparseL14nnz_kernel_rowILi64ELi16ElidEEv16rocsparse_order_T2_S2_PKT3_lPT1_,comdat
	.globl	_ZN9rocsparseL14nnz_kernel_rowILi64ELi16ElidEEv16rocsparse_order_T2_S2_PKT3_lPT1_ ; -- Begin function _ZN9rocsparseL14nnz_kernel_rowILi64ELi16ElidEEv16rocsparse_order_T2_S2_PKT3_lPT1_
	.p2align	8
	.type	_ZN9rocsparseL14nnz_kernel_rowILi64ELi16ElidEEv16rocsparse_order_T2_S2_PKT3_lPT1_,@function
_ZN9rocsparseL14nnz_kernel_rowILi64ELi16ElidEEv16rocsparse_order_T2_S2_PKT3_lPT1_: ; @_ZN9rocsparseL14nnz_kernel_rowILi64ELi16ElidEEv16rocsparse_order_T2_S2_PKT3_lPT1_
; %bb.0:
	s_clause 0x2
	s_load_b32 s2, s[0:1], 0x34
	s_load_b256 s[16:23], s[0:1], 0x0
	s_load_b64 s[6:7], s[0:1], 0x20
	s_mov_b32 s8, 0
	s_lshl_b32 s5, s15, 8
	s_mov_b32 s9, s8
	s_mov_b32 s10, s8
	;; [unrolled: 1-line block ×7, first 2 shown]
	v_and_b32_e32 v1, 0x3ff, v0
	v_bfe_u32 v0, v0, 10, 10
	s_mov_b32 s24, exec_lo
	s_waitcnt lgkmcnt(0)
	s_and_b32 s0, s2, 0xffff
	s_delay_alu instid0(VALU_DEP_1) | instid1(SALU_CYCLE_1)
	v_mad_u32_u24 v20, v0, s0, v1
	s_ashr_i32 s0, s18, 31
	s_delay_alu instid0(SALU_CYCLE_1) | instskip(NEXT) | instid1(SALU_CYCLE_1)
	s_lshr_b32 s0, s0, 26
	s_add_i32 s19, s18, s0
	s_delay_alu instid0(VALU_DEP_1) | instskip(SKIP_2) | instid1(VALU_DEP_2)
	v_lshrrev_b32_e32 v0, 4, v20
	v_and_b32_e32 v21, 63, v20
	s_and_not1_b32 s19, s19, 63
	v_and_b32_e32 v16, 0x7ffffc, v0
	v_dual_mov_b32 v0, s8 :: v_dual_mov_b32 v1, s9
	s_delay_alu instid0(VALU_DEP_3) | instskip(SKIP_3) | instid1(VALU_DEP_4)
	v_or_b32_e32 v18, s5, v21
	v_dual_mov_b32 v2, s10 :: v_dual_mov_b32 v3, s11
	v_dual_mov_b32 v4, s12 :: v_dual_mov_b32 v5, s13
	;; [unrolled: 1-line block ×3, first 2 shown]
	v_or_b32_e32 v24, 64, v18
	v_or_b32_e32 v23, 0x80, v18
	;; [unrolled: 1-line block ×3, first 2 shown]
	v_cmpx_gt_i32_e64 s19, v16
	s_cbranch_execz .LBB18_28
; %bb.1:
	v_lshrrev_b32_e32 v15, 6, v20
	v_cmp_gt_i32_e64 s0, s17, v18
	v_cmp_gt_i32_e64 s1, s17, v24
	;; [unrolled: 1-line block ×4, first 2 shown]
	v_lshlrev_b32_e32 v27, 2, v15
	v_lshlrev_b32_e32 v35, 5, v15
	s_cmp_lg_u32 s16, 1
	s_delay_alu instid0(VALU_DEP_2) | instskip(SKIP_1) | instid1(VALU_DEP_2)
	v_or_b32_e32 v12, 3, v27
	v_or_b32_e32 v19, 2, v27
	v_mad_u64_u32 v[4:5], null, s22, v12, 0
	v_add_nc_u32_e32 v0, s5, v21
	s_delay_alu instid0(VALU_DEP_3) | instskip(NEXT) | instid1(VALU_DEP_2)
	v_mad_u64_u32 v[8:9], null, s22, v19, 0
	v_ashrrev_i32_e32 v1, 31, v0
	s_delay_alu instid0(VALU_DEP_1)
	v_mul_lo_u32 v17, s22, v1
	v_lshlrev_b64 v[6:7], 3, v[0:1]
	v_mov_b32_e32 v1, v5
	v_mad_u64_u32 v[2:3], null, s22, v0, 0
	v_mul_lo_u32 v13, s23, v0
	v_add_nc_u32_e32 v14, 64, v0
	s_delay_alu instid0(VALU_DEP_3) | instskip(SKIP_1) | instid1(VALU_DEP_4)
	v_mad_u64_u32 v[10:11], null, s23, v12, v[1:2]
	v_mov_b32_e32 v1, v9
	v_add3_u32 v3, v3, v17, v13
	s_delay_alu instid0(VALU_DEP_4)
	v_ashrrev_i32_e32 v25, 31, v14
	v_add_nc_u32_e32 v28, 0x80, v0
	v_mul_lo_u32 v26, s23, v14
	v_mad_u64_u32 v[11:12], null, s22, v14, 0
	v_mov_b32_e32 v5, v10
	v_lshlrev_b64 v[2:3], 3, v[2:3]
	v_mul_lo_u32 v25, s22, v25
	v_mad_u64_u32 v[13:14], null, s22, v27, s[22:23]
	s_delay_alu instid0(VALU_DEP_4)
	v_lshlrev_b64 v[4:5], 3, v[4:5]
	v_ashrrev_i32_e32 v29, 31, v28
	v_add_co_u32 v17, vcc_lo, v2, v35
	v_mad_u64_u32 v[9:10], null, s23, v19, v[1:2]
	v_add_co_ci_u32_e32 v19, vcc_lo, 0, v3, vcc_lo
	v_add3_u32 v12, v12, v25, v26
	v_add_co_u32 v25, vcc_lo, v4, v6
	v_add_co_ci_u32_e32 v26, vcc_lo, v5, v7, vcc_lo
	v_mad_u64_u32 v[4:5], null, s22, v28, 0
	v_mov_b32_e32 v3, v14
	v_lshlrev_b64 v[1:2], 3, v[11:12]
	v_mul_lo_u32 v12, s22, v29
	v_mul_lo_u32 v14, s23, v28
	s_delay_alu instid0(VALU_DEP_4) | instskip(SKIP_4) | instid1(VALU_DEP_4)
	v_mad_u64_u32 v[10:11], null, s23, v27, v[3:4]
	v_add_nc_u32_e32 v11, 0xc0, v0
	v_add_co_u32 v27, vcc_lo, v1, v35
	v_add_co_ci_u32_e32 v28, vcc_lo, 0, v2, vcc_lo
	v_lshlrev_b64 v[2:3], 3, v[8:9]
	v_ashrrev_i32_e32 v29, 31, v11
	v_add3_u32 v5, v5, v12, v14
	v_mad_u64_u32 v[0:1], null, s22, v15, 0
	v_mul_lo_u32 v31, s23, v11
	s_delay_alu instid0(VALU_DEP_4)
	v_mul_lo_u32 v12, s22, v29
	v_add_co_u32 v29, vcc_lo, v2, v6
	v_add_co_ci_u32_e32 v30, vcc_lo, v3, v7, vcc_lo
	v_lshlrev_b64 v[2:3], 3, v[4:5]
	v_mad_u64_u32 v[8:9], null, s22, v11, 0
	v_mov_b32_e32 v14, v10
	s_delay_alu instid0(VALU_DEP_3) | instskip(NEXT) | instid1(VALU_DEP_2)
	v_mad_u64_u32 v[4:5], null, s23, v15, v[1:2]
	v_lshlrev_b64 v[10:11], 3, v[13:14]
	s_delay_alu instid0(VALU_DEP_4) | instskip(SKIP_3) | instid1(VALU_DEP_4)
	v_add3_u32 v9, v9, v12, v31
	v_add_co_u32 v31, vcc_lo, v2, v35
	v_add_co_ci_u32_e32 v32, vcc_lo, 0, v3, vcc_lo
	v_mov_b32_e32 v1, v4
	v_lshlrev_b64 v[2:3], 3, v[8:9]
	v_add_co_u32 v33, vcc_lo, v10, v6
	v_add_co_ci_u32_e32 v34, vcc_lo, v11, v7, vcc_lo
	s_delay_alu instid0(VALU_DEP_4) | instskip(NEXT) | instid1(VALU_DEP_4)
	v_lshlrev_b64 v[0:1], 5, v[0:1]
	v_add_co_u32 v35, vcc_lo, v2, v35
	v_add_co_ci_u32_e32 v36, vcc_lo, 0, v3, vcc_lo
	s_delay_alu instid0(VALU_DEP_3) | instskip(NEXT) | instid1(VALU_DEP_4)
	v_add_co_u32 v37, vcc_lo, v0, v6
	v_add_co_ci_u32_e32 v38, vcc_lo, v1, v7, vcc_lo
	v_mov_b32_e32 v0, s8
	v_dual_mov_b32 v6, s14 :: v_dual_mov_b32 v1, s9
	v_dual_mov_b32 v2, s10 :: v_dual_mov_b32 v3, s11
	;; [unrolled: 1-line block ×3, first 2 shown]
	v_mov_b32_e32 v7, s15
	s_cselect_b32 s9, -1, 0
	s_lshl_b64 s[10:11], s[22:23], 9
	s_branch .LBB18_4
.LBB18_2:                               ;   in Loop: Header=BB18_4 Depth=1
	s_delay_alu instid0(VALU_DEP_1) | instskip(NEXT) | instid1(VALU_DEP_3)
	v_dual_mov_b32 v0, v8 :: v_dual_mov_b32 v1, v9
	v_dual_mov_b32 v2, v10 :: v_dual_mov_b32 v3, v11
	;; [unrolled: 1-line block ×4, first 2 shown]
.LBB18_3:                               ;   in Loop: Header=BB18_4 Depth=1
	s_or_b32 exec_lo, exec_lo, s4
	v_add_co_u32 v17, vcc_lo, 0x200, v17
	v_add_co_ci_u32_e32 v19, vcc_lo, 0, v19, vcc_lo
	v_add_co_u32 v25, vcc_lo, v25, s10
	v_add_co_ci_u32_e32 v26, vcc_lo, s11, v26, vcc_lo
	;; [unrolled: 2-line block ×5, first 2 shown]
	v_add_co_u32 v33, vcc_lo, v33, s10
	v_add_nc_u32_e32 v16, 64, v16
	v_add_co_ci_u32_e32 v34, vcc_lo, s11, v34, vcc_lo
	v_add_co_u32 v35, vcc_lo, 0x200, v35
	v_add_co_ci_u32_e32 v36, vcc_lo, 0, v36, vcc_lo
	s_delay_alu instid0(VALU_DEP_4) | instskip(SKIP_1) | instid1(VALU_DEP_1)
	v_cmp_le_i32_e32 vcc_lo, s19, v16
	v_add_co_u32 v37, s4, v37, s10
	v_add_co_ci_u32_e64 v38, s4, s11, v38, s4
	s_or_b32 s8, vcc_lo, s8
	s_delay_alu instid0(SALU_CYCLE_1)
	s_and_not1_b32 exec_lo, exec_lo, s8
	s_cbranch_execz .LBB18_27
.LBB18_4:                               ; =>This Inner Loop Header: Depth=1
	s_and_saveexec_b32 s4, s0
	s_cbranch_execnz .LBB18_8
; %bb.5:                                ;   in Loop: Header=BB18_4 Depth=1
	s_or_b32 exec_lo, exec_lo, s4
	s_and_saveexec_b32 s4, s1
	s_cbranch_execnz .LBB18_13
.LBB18_6:                               ;   in Loop: Header=BB18_4 Depth=1
	s_or_b32 exec_lo, exec_lo, s4
	s_and_saveexec_b32 s4, s2
	s_cbranch_execnz .LBB18_18
.LBB18_7:                               ;   in Loop: Header=BB18_4 Depth=1
	s_or_b32 exec_lo, exec_lo, s4
	s_and_saveexec_b32 s4, s3
	s_cbranch_execz .LBB18_3
	s_branch .LBB18_23
.LBB18_8:                               ;   in Loop: Header=BB18_4 Depth=1
	s_and_not1_b32 vcc_lo, exec_lo, s9
	s_cbranch_vccnz .LBB18_10
; %bb.9:                                ;   in Loop: Header=BB18_4 Depth=1
	v_add_co_u32 v12, vcc_lo, s20, v17
	v_add_co_ci_u32_e32 v13, vcc_lo, s21, v19, vcc_lo
	v_add_co_u32 v39, vcc_lo, v0, 1
	v_add_co_ci_u32_e32 v40, vcc_lo, 0, v1, vcc_lo
	s_clause 0x1
	global_load_b128 v[8:11], v[12:13], off
	global_load_b128 v[12:15], v[12:13], off offset:16
	s_waitcnt vmcnt(1)
	v_cmp_neq_f64_e32 vcc_lo, 0, v[8:9]
	v_dual_cndmask_b32 v8, v1, v40 :: v_dual_cndmask_b32 v9, v0, v39
	s_delay_alu instid0(VALU_DEP_1) | instskip(NEXT) | instid1(VALU_DEP_2)
	v_add_co_u32 v39, vcc_lo, v9, 1
	v_add_co_ci_u32_e32 v40, vcc_lo, 0, v8, vcc_lo
	v_cmp_neq_f64_e32 vcc_lo, 0, v[10:11]
	s_delay_alu instid0(VALU_DEP_2) | instskip(NEXT) | instid1(VALU_DEP_1)
	v_dual_cndmask_b32 v8, v8, v40 :: v_dual_cndmask_b32 v9, v9, v39
	v_add_co_u32 v10, vcc_lo, v9, 1
	s_delay_alu instid0(VALU_DEP_2) | instskip(SKIP_3) | instid1(VALU_DEP_3)
	v_add_co_ci_u32_e32 v11, vcc_lo, 0, v8, vcc_lo
	s_waitcnt vmcnt(0)
	v_cmp_neq_f64_e32 vcc_lo, 0, v[12:13]
	v_dual_mov_b32 v12, v4 :: v_dual_mov_b32 v13, v5
	v_dual_cndmask_b32 v8, v8, v11 :: v_dual_cndmask_b32 v39, v9, v10
	v_dual_mov_b32 v10, v2 :: v_dual_mov_b32 v11, v3
	s_delay_alu instid0(VALU_DEP_2) | instskip(NEXT) | instid1(VALU_DEP_3)
	v_add_co_u32 v40, vcc_lo, v39, 1
	v_add_co_ci_u32_e32 v9, vcc_lo, 0, v8, vcc_lo
	v_cmp_neq_f64_e32 vcc_lo, 0, v[14:15]
	v_dual_mov_b32 v14, v6 :: v_dual_mov_b32 v15, v7
	s_delay_alu instid0(VALU_DEP_3)
	v_dual_cndmask_b32 v9, v8, v9 :: v_dual_cndmask_b32 v8, v39, v40
	s_cbranch_execz .LBB18_11
	s_branch .LBB18_12
.LBB18_10:                              ;   in Loop: Header=BB18_4 Depth=1
                                        ; implicit-def: $vgpr8_vgpr9_vgpr10_vgpr11_vgpr12_vgpr13_vgpr14_vgpr15
.LBB18_11:                              ;   in Loop: Header=BB18_4 Depth=1
	v_add_co_u32 v8, vcc_lo, s20, v37
	v_add_co_ci_u32_e32 v9, vcc_lo, s21, v38, vcc_lo
	v_add_co_u32 v10, vcc_lo, s20, v33
	v_add_co_ci_u32_e32 v11, vcc_lo, s21, v34, vcc_lo
	global_load_b64 v[8:9], v[8:9], off
	v_add_co_u32 v12, vcc_lo, s20, v29
	global_load_b64 v[10:11], v[10:11], off
	v_add_co_ci_u32_e32 v13, vcc_lo, s21, v30, vcc_lo
	v_add_co_u32 v14, vcc_lo, s20, v25
	v_add_co_ci_u32_e32 v15, vcc_lo, s21, v26, vcc_lo
	global_load_b64 v[12:13], v[12:13], off
	v_add_co_u32 v39, vcc_lo, v0, 1
	global_load_b64 v[14:15], v[14:15], off
	v_add_co_ci_u32_e32 v40, vcc_lo, 0, v1, vcc_lo
	s_waitcnt vmcnt(3)
	v_cmp_neq_f64_e32 vcc_lo, 0, v[8:9]
	s_delay_alu instid0(VALU_DEP_2) | instskip(NEXT) | instid1(VALU_DEP_1)
	v_dual_cndmask_b32 v1, v1, v40 :: v_dual_cndmask_b32 v0, v0, v39
	v_add_co_u32 v8, vcc_lo, v0, 1
	s_delay_alu instid0(VALU_DEP_2) | instskip(SKIP_2) | instid1(VALU_DEP_2)
	v_add_co_ci_u32_e32 v9, vcc_lo, 0, v1, vcc_lo
	s_waitcnt vmcnt(2)
	v_cmp_neq_f64_e32 vcc_lo, 0, v[10:11]
	v_dual_cndmask_b32 v1, v1, v9 :: v_dual_cndmask_b32 v0, v0, v8
	s_delay_alu instid0(VALU_DEP_1) | instskip(NEXT) | instid1(VALU_DEP_2)
	v_add_co_u32 v8, vcc_lo, v0, 1
	v_add_co_ci_u32_e32 v9, vcc_lo, 0, v1, vcc_lo
	s_waitcnt vmcnt(1)
	v_cmp_neq_f64_e32 vcc_lo, 0, v[12:13]
	s_delay_alu instid0(VALU_DEP_2) | instskip(NEXT) | instid1(VALU_DEP_1)
	v_dual_cndmask_b32 v1, v1, v9 :: v_dual_cndmask_b32 v0, v0, v8
	v_add_co_u32 v8, vcc_lo, v0, 1
	s_delay_alu instid0(VALU_DEP_2) | instskip(SKIP_2) | instid1(VALU_DEP_2)
	v_add_co_ci_u32_e32 v9, vcc_lo, 0, v1, vcc_lo
	s_waitcnt vmcnt(0)
	v_cmp_neq_f64_e32 vcc_lo, 0, v[14:15]
	v_dual_cndmask_b32 v1, v1, v9 :: v_dual_cndmask_b32 v0, v0, v8
	v_dual_mov_b32 v15, v7 :: v_dual_mov_b32 v14, v6
	v_dual_mov_b32 v13, v5 :: v_dual_mov_b32 v12, v4
	;; [unrolled: 1-line block ×3, first 2 shown]
	s_delay_alu instid0(VALU_DEP_4)
	v_dual_mov_b32 v9, v1 :: v_dual_mov_b32 v8, v0
.LBB18_12:                              ;   in Loop: Header=BB18_4 Depth=1
	s_delay_alu instid0(VALU_DEP_1) | instskip(NEXT) | instid1(VALU_DEP_3)
	v_dual_mov_b32 v0, v8 :: v_dual_mov_b32 v1, v9
	v_dual_mov_b32 v2, v10 :: v_dual_mov_b32 v3, v11
	;; [unrolled: 1-line block ×4, first 2 shown]
	s_or_b32 exec_lo, exec_lo, s4
	s_and_saveexec_b32 s4, s1
	s_cbranch_execz .LBB18_6
.LBB18_13:                              ;   in Loop: Header=BB18_4 Depth=1
	s_and_not1_b32 vcc_lo, exec_lo, s9
	s_cbranch_vccnz .LBB18_15
; %bb.14:                               ;   in Loop: Header=BB18_4 Depth=1
	v_add_co_u32 v12, vcc_lo, s20, v27
	v_add_co_ci_u32_e32 v13, vcc_lo, s21, v28, vcc_lo
	v_add_co_u32 v39, vcc_lo, v2, 1
	v_add_co_ci_u32_e32 v40, vcc_lo, 0, v3, vcc_lo
	s_clause 0x1
	global_load_b128 v[8:11], v[12:13], off
	global_load_b128 v[12:15], v[12:13], off offset:16
	s_waitcnt vmcnt(1)
	v_cmp_neq_f64_e32 vcc_lo, 0, v[8:9]
	v_dual_cndmask_b32 v8, v3, v40 :: v_dual_cndmask_b32 v9, v2, v39
	s_delay_alu instid0(VALU_DEP_1) | instskip(NEXT) | instid1(VALU_DEP_2)
	v_add_co_u32 v39, vcc_lo, v9, 1
	v_add_co_ci_u32_e32 v40, vcc_lo, 0, v8, vcc_lo
	v_cmp_neq_f64_e32 vcc_lo, 0, v[10:11]
	s_delay_alu instid0(VALU_DEP_2) | instskip(NEXT) | instid1(VALU_DEP_1)
	v_dual_cndmask_b32 v8, v8, v40 :: v_dual_cndmask_b32 v9, v9, v39
	v_add_co_u32 v10, vcc_lo, v9, 1
	s_delay_alu instid0(VALU_DEP_2) | instskip(SKIP_3) | instid1(VALU_DEP_3)
	v_add_co_ci_u32_e32 v11, vcc_lo, 0, v8, vcc_lo
	s_waitcnt vmcnt(0)
	v_cmp_neq_f64_e32 vcc_lo, 0, v[12:13]
	v_dual_mov_b32 v12, v4 :: v_dual_mov_b32 v13, v5
	v_dual_cndmask_b32 v11, v8, v11 :: v_dual_cndmask_b32 v10, v9, v10
	v_dual_mov_b32 v8, v0 :: v_dual_mov_b32 v9, v1
	s_delay_alu instid0(VALU_DEP_2) | instskip(NEXT) | instid1(VALU_DEP_3)
	v_add_co_u32 v39, vcc_lo, v10, 1
	v_add_co_ci_u32_e32 v40, vcc_lo, 0, v11, vcc_lo
	v_cmp_neq_f64_e32 vcc_lo, 0, v[14:15]
	v_dual_mov_b32 v14, v6 :: v_dual_mov_b32 v15, v7
	s_delay_alu instid0(VALU_DEP_3)
	v_dual_cndmask_b32 v11, v11, v40 :: v_dual_cndmask_b32 v10, v10, v39
	s_cbranch_execz .LBB18_16
	s_branch .LBB18_17
.LBB18_15:                              ;   in Loop: Header=BB18_4 Depth=1
                                        ; implicit-def: $vgpr8_vgpr9_vgpr10_vgpr11_vgpr12_vgpr13_vgpr14_vgpr15
.LBB18_16:                              ;   in Loop: Header=BB18_4 Depth=1
	v_add_co_u32 v8, vcc_lo, s20, v37
	v_add_co_ci_u32_e32 v9, vcc_lo, s21, v38, vcc_lo
	v_add_co_u32 v10, vcc_lo, s20, v33
	v_add_co_ci_u32_e32 v11, vcc_lo, s21, v34, vcc_lo
	global_load_b64 v[8:9], v[8:9], off offset:512
	v_add_co_u32 v12, vcc_lo, s20, v29
	global_load_b64 v[10:11], v[10:11], off offset:512
	v_add_co_ci_u32_e32 v13, vcc_lo, s21, v30, vcc_lo
	v_add_co_u32 v14, vcc_lo, s20, v25
	v_add_co_ci_u32_e32 v15, vcc_lo, s21, v26, vcc_lo
	global_load_b64 v[12:13], v[12:13], off offset:512
	v_add_co_u32 v39, vcc_lo, v2, 1
	global_load_b64 v[14:15], v[14:15], off offset:512
	v_add_co_ci_u32_e32 v40, vcc_lo, 0, v3, vcc_lo
	s_waitcnt vmcnt(3)
	v_cmp_neq_f64_e32 vcc_lo, 0, v[8:9]
	s_delay_alu instid0(VALU_DEP_2) | instskip(NEXT) | instid1(VALU_DEP_1)
	v_dual_cndmask_b32 v3, v3, v40 :: v_dual_cndmask_b32 v2, v2, v39
	v_add_co_u32 v8, vcc_lo, v2, 1
	s_delay_alu instid0(VALU_DEP_2) | instskip(SKIP_2) | instid1(VALU_DEP_2)
	v_add_co_ci_u32_e32 v9, vcc_lo, 0, v3, vcc_lo
	s_waitcnt vmcnt(2)
	v_cmp_neq_f64_e32 vcc_lo, 0, v[10:11]
	v_dual_cndmask_b32 v3, v3, v9 :: v_dual_cndmask_b32 v2, v2, v8
	s_delay_alu instid0(VALU_DEP_1) | instskip(NEXT) | instid1(VALU_DEP_2)
	v_add_co_u32 v8, vcc_lo, v2, 1
	v_add_co_ci_u32_e32 v9, vcc_lo, 0, v3, vcc_lo
	s_waitcnt vmcnt(1)
	v_cmp_neq_f64_e32 vcc_lo, 0, v[12:13]
	s_delay_alu instid0(VALU_DEP_2) | instskip(NEXT) | instid1(VALU_DEP_1)
	v_dual_cndmask_b32 v3, v3, v9 :: v_dual_cndmask_b32 v2, v2, v8
	v_add_co_u32 v8, vcc_lo, v2, 1
	s_delay_alu instid0(VALU_DEP_2) | instskip(SKIP_2) | instid1(VALU_DEP_2)
	v_add_co_ci_u32_e32 v9, vcc_lo, 0, v3, vcc_lo
	s_waitcnt vmcnt(0)
	v_cmp_neq_f64_e32 vcc_lo, 0, v[14:15]
	v_dual_cndmask_b32 v3, v3, v9 :: v_dual_cndmask_b32 v2, v2, v8
	v_dual_mov_b32 v15, v7 :: v_dual_mov_b32 v14, v6
	v_dual_mov_b32 v13, v5 :: v_dual_mov_b32 v12, v4
	s_delay_alu instid0(VALU_DEP_3)
	v_dual_mov_b32 v11, v3 :: v_dual_mov_b32 v10, v2
	v_dual_mov_b32 v9, v1 :: v_dual_mov_b32 v8, v0
.LBB18_17:                              ;   in Loop: Header=BB18_4 Depth=1
	s_delay_alu instid0(VALU_DEP_1) | instskip(NEXT) | instid1(VALU_DEP_2)
	v_dual_mov_b32 v0, v8 :: v_dual_mov_b32 v1, v9
	v_dual_mov_b32 v2, v10 :: v_dual_mov_b32 v3, v11
	;; [unrolled: 1-line block ×4, first 2 shown]
	s_or_b32 exec_lo, exec_lo, s4
	s_and_saveexec_b32 s4, s2
	s_cbranch_execz .LBB18_7
.LBB18_18:                              ;   in Loop: Header=BB18_4 Depth=1
	s_and_not1_b32 vcc_lo, exec_lo, s9
	s_cbranch_vccnz .LBB18_20
; %bb.19:                               ;   in Loop: Header=BB18_4 Depth=1
	v_add_co_u32 v12, vcc_lo, s20, v31
	v_add_co_ci_u32_e32 v13, vcc_lo, s21, v32, vcc_lo
	v_add_co_u32 v39, vcc_lo, v4, 1
	v_add_co_ci_u32_e32 v40, vcc_lo, 0, v5, vcc_lo
	s_clause 0x1
	global_load_b128 v[8:11], v[12:13], off
	global_load_b128 v[12:15], v[12:13], off offset:16
	s_waitcnt vmcnt(1)
	v_cmp_neq_f64_e32 vcc_lo, 0, v[8:9]
	v_dual_cndmask_b32 v8, v5, v40 :: v_dual_cndmask_b32 v9, v4, v39
	s_delay_alu instid0(VALU_DEP_1) | instskip(NEXT) | instid1(VALU_DEP_2)
	v_add_co_u32 v39, vcc_lo, v9, 1
	v_add_co_ci_u32_e32 v40, vcc_lo, 0, v8, vcc_lo
	v_cmp_neq_f64_e32 vcc_lo, 0, v[10:11]
	s_delay_alu instid0(VALU_DEP_2) | instskip(NEXT) | instid1(VALU_DEP_1)
	v_dual_cndmask_b32 v8, v8, v40 :: v_dual_cndmask_b32 v9, v9, v39
	v_add_co_u32 v10, vcc_lo, v9, 1
	s_delay_alu instid0(VALU_DEP_2) | instskip(SKIP_2) | instid1(VALU_DEP_2)
	v_add_co_ci_u32_e32 v11, vcc_lo, 0, v8, vcc_lo
	s_waitcnt vmcnt(0)
	v_cmp_neq_f64_e32 vcc_lo, 0, v[12:13]
	v_dual_cndmask_b32 v12, v8, v11 :: v_dual_cndmask_b32 v39, v9, v10
	v_dual_mov_b32 v8, v0 :: v_dual_mov_b32 v9, v1
	v_dual_mov_b32 v10, v2 :: v_dual_mov_b32 v11, v3
	s_delay_alu instid0(VALU_DEP_3) | instskip(NEXT) | instid1(VALU_DEP_4)
	v_add_co_u32 v40, vcc_lo, v39, 1
	v_add_co_ci_u32_e32 v13, vcc_lo, 0, v12, vcc_lo
	v_cmp_neq_f64_e32 vcc_lo, 0, v[14:15]
	v_dual_mov_b32 v14, v6 :: v_dual_mov_b32 v15, v7
	s_delay_alu instid0(VALU_DEP_3)
	v_dual_cndmask_b32 v13, v12, v13 :: v_dual_cndmask_b32 v12, v39, v40
	s_cbranch_execz .LBB18_21
	s_branch .LBB18_22
.LBB18_20:                              ;   in Loop: Header=BB18_4 Depth=1
                                        ; implicit-def: $vgpr8_vgpr9_vgpr10_vgpr11_vgpr12_vgpr13_vgpr14_vgpr15
.LBB18_21:                              ;   in Loop: Header=BB18_4 Depth=1
	v_add_co_u32 v8, vcc_lo, s20, v37
	v_add_co_ci_u32_e32 v9, vcc_lo, s21, v38, vcc_lo
	v_add_co_u32 v10, vcc_lo, s20, v33
	v_add_co_ci_u32_e32 v11, vcc_lo, s21, v34, vcc_lo
	global_load_b64 v[8:9], v[8:9], off offset:1024
	v_add_co_u32 v12, vcc_lo, s20, v29
	global_load_b64 v[10:11], v[10:11], off offset:1024
	v_add_co_ci_u32_e32 v13, vcc_lo, s21, v30, vcc_lo
	v_add_co_u32 v14, vcc_lo, s20, v25
	v_add_co_ci_u32_e32 v15, vcc_lo, s21, v26, vcc_lo
	global_load_b64 v[12:13], v[12:13], off offset:1024
	v_add_co_u32 v39, vcc_lo, v4, 1
	global_load_b64 v[14:15], v[14:15], off offset:1024
	v_add_co_ci_u32_e32 v40, vcc_lo, 0, v5, vcc_lo
	s_waitcnt vmcnt(3)
	v_cmp_neq_f64_e32 vcc_lo, 0, v[8:9]
	s_delay_alu instid0(VALU_DEP_2) | instskip(NEXT) | instid1(VALU_DEP_1)
	v_dual_cndmask_b32 v5, v5, v40 :: v_dual_cndmask_b32 v4, v4, v39
	v_add_co_u32 v8, vcc_lo, v4, 1
	s_delay_alu instid0(VALU_DEP_2) | instskip(SKIP_2) | instid1(VALU_DEP_2)
	v_add_co_ci_u32_e32 v9, vcc_lo, 0, v5, vcc_lo
	s_waitcnt vmcnt(2)
	v_cmp_neq_f64_e32 vcc_lo, 0, v[10:11]
	v_dual_cndmask_b32 v5, v5, v9 :: v_dual_cndmask_b32 v4, v4, v8
	s_delay_alu instid0(VALU_DEP_1) | instskip(NEXT) | instid1(VALU_DEP_2)
	v_add_co_u32 v8, vcc_lo, v4, 1
	v_add_co_ci_u32_e32 v9, vcc_lo, 0, v5, vcc_lo
	s_waitcnt vmcnt(1)
	v_cmp_neq_f64_e32 vcc_lo, 0, v[12:13]
	s_delay_alu instid0(VALU_DEP_2) | instskip(NEXT) | instid1(VALU_DEP_1)
	v_dual_cndmask_b32 v5, v5, v9 :: v_dual_cndmask_b32 v4, v4, v8
	v_add_co_u32 v8, vcc_lo, v4, 1
	s_delay_alu instid0(VALU_DEP_2) | instskip(SKIP_2) | instid1(VALU_DEP_2)
	v_add_co_ci_u32_e32 v9, vcc_lo, 0, v5, vcc_lo
	s_waitcnt vmcnt(0)
	v_cmp_neq_f64_e32 vcc_lo, 0, v[14:15]
	v_dual_cndmask_b32 v5, v5, v9 :: v_dual_cndmask_b32 v4, v4, v8
	v_dual_mov_b32 v15, v7 :: v_dual_mov_b32 v14, v6
	v_dual_mov_b32 v11, v3 :: v_dual_mov_b32 v10, v2
	s_delay_alu instid0(VALU_DEP_3)
	v_dual_mov_b32 v13, v5 :: v_dual_mov_b32 v12, v4
	v_dual_mov_b32 v9, v1 :: v_dual_mov_b32 v8, v0
.LBB18_22:                              ;   in Loop: Header=BB18_4 Depth=1
	s_delay_alu instid0(VALU_DEP_1) | instskip(NEXT) | instid1(VALU_DEP_4)
	v_dual_mov_b32 v0, v8 :: v_dual_mov_b32 v1, v9
	v_dual_mov_b32 v2, v10 :: v_dual_mov_b32 v3, v11
	s_delay_alu instid0(VALU_DEP_3)
	v_dual_mov_b32 v4, v12 :: v_dual_mov_b32 v5, v13
	v_dual_mov_b32 v6, v14 :: v_dual_mov_b32 v7, v15
	s_or_b32 exec_lo, exec_lo, s4
	s_and_saveexec_b32 s4, s3
	s_cbranch_execz .LBB18_3
.LBB18_23:                              ;   in Loop: Header=BB18_4 Depth=1
	s_and_not1_b32 vcc_lo, exec_lo, s9
	s_cbranch_vccnz .LBB18_25
; %bb.24:                               ;   in Loop: Header=BB18_4 Depth=1
	v_add_co_u32 v12, vcc_lo, s20, v35
	v_add_co_ci_u32_e32 v13, vcc_lo, s21, v36, vcc_lo
	v_add_co_u32 v39, vcc_lo, v6, 1
	v_add_co_ci_u32_e32 v40, vcc_lo, 0, v7, vcc_lo
	s_clause 0x1
	global_load_b128 v[8:11], v[12:13], off
	global_load_b128 v[12:15], v[12:13], off offset:16
	s_waitcnt vmcnt(1)
	v_cmp_neq_f64_e32 vcc_lo, 0, v[8:9]
	v_dual_cndmask_b32 v8, v7, v40 :: v_dual_cndmask_b32 v9, v6, v39
	s_delay_alu instid0(VALU_DEP_1) | instskip(NEXT) | instid1(VALU_DEP_2)
	v_add_co_u32 v39, vcc_lo, v9, 1
	v_add_co_ci_u32_e32 v40, vcc_lo, 0, v8, vcc_lo
	v_cmp_neq_f64_e32 vcc_lo, 0, v[10:11]
	s_delay_alu instid0(VALU_DEP_2) | instskip(NEXT) | instid1(VALU_DEP_1)
	v_dual_cndmask_b32 v8, v8, v40 :: v_dual_cndmask_b32 v9, v9, v39
	v_add_co_u32 v10, vcc_lo, v9, 1
	s_delay_alu instid0(VALU_DEP_2) | instskip(SKIP_2) | instid1(VALU_DEP_3)
	v_add_co_ci_u32_e32 v11, vcc_lo, 0, v8, vcc_lo
	s_waitcnt vmcnt(0)
	v_cmp_neq_f64_e32 vcc_lo, 0, v[12:13]
	v_dual_mov_b32 v12, v4 :: v_dual_cndmask_b32 v39, v9, v10
	s_delay_alu instid0(VALU_DEP_3) | instskip(SKIP_1) | instid1(VALU_DEP_3)
	v_dual_cndmask_b32 v13, v8, v11 :: v_dual_mov_b32 v10, v2
	v_dual_mov_b32 v8, v0 :: v_dual_mov_b32 v9, v1
	v_add_co_u32 v40, vcc_lo, v39, 1
	s_delay_alu instid0(VALU_DEP_3) | instskip(SKIP_2) | instid1(VALU_DEP_3)
	v_add_co_ci_u32_e32 v41, vcc_lo, 0, v13, vcc_lo
	v_cmp_neq_f64_e32 vcc_lo, 0, v[14:15]
	v_mov_b32_e32 v11, v3
	v_dual_cndmask_b32 v15, v13, v41 :: v_dual_cndmask_b32 v14, v39, v40
	v_mov_b32_e32 v13, v5
	s_cbranch_execnz .LBB18_2
	s_branch .LBB18_26
.LBB18_25:                              ;   in Loop: Header=BB18_4 Depth=1
                                        ; implicit-def: $vgpr8_vgpr9_vgpr10_vgpr11_vgpr12_vgpr13_vgpr14_vgpr15
.LBB18_26:                              ;   in Loop: Header=BB18_4 Depth=1
	v_add_co_u32 v8, vcc_lo, s20, v37
	v_add_co_ci_u32_e32 v9, vcc_lo, s21, v38, vcc_lo
	v_add_co_u32 v10, vcc_lo, s20, v33
	v_add_co_ci_u32_e32 v11, vcc_lo, s21, v34, vcc_lo
	global_load_b64 v[8:9], v[8:9], off offset:1536
	v_add_co_u32 v12, vcc_lo, s20, v29
	global_load_b64 v[10:11], v[10:11], off offset:1536
	v_add_co_ci_u32_e32 v13, vcc_lo, s21, v30, vcc_lo
	v_add_co_u32 v14, vcc_lo, s20, v25
	v_add_co_ci_u32_e32 v15, vcc_lo, s21, v26, vcc_lo
	global_load_b64 v[12:13], v[12:13], off offset:1536
	v_add_co_u32 v39, vcc_lo, v6, 1
	global_load_b64 v[14:15], v[14:15], off offset:1536
	v_add_co_ci_u32_e32 v40, vcc_lo, 0, v7, vcc_lo
	s_waitcnt vmcnt(3)
	v_cmp_neq_f64_e32 vcc_lo, 0, v[8:9]
	s_delay_alu instid0(VALU_DEP_2) | instskip(NEXT) | instid1(VALU_DEP_1)
	v_dual_cndmask_b32 v7, v7, v40 :: v_dual_cndmask_b32 v6, v6, v39
	v_add_co_u32 v8, vcc_lo, v6, 1
	s_delay_alu instid0(VALU_DEP_2) | instskip(SKIP_2) | instid1(VALU_DEP_2)
	v_add_co_ci_u32_e32 v9, vcc_lo, 0, v7, vcc_lo
	s_waitcnt vmcnt(2)
	v_cmp_neq_f64_e32 vcc_lo, 0, v[10:11]
	v_dual_cndmask_b32 v7, v7, v9 :: v_dual_cndmask_b32 v6, v6, v8
	s_delay_alu instid0(VALU_DEP_1) | instskip(NEXT) | instid1(VALU_DEP_2)
	v_add_co_u32 v8, vcc_lo, v6, 1
	v_add_co_ci_u32_e32 v9, vcc_lo, 0, v7, vcc_lo
	s_waitcnt vmcnt(1)
	v_cmp_neq_f64_e32 vcc_lo, 0, v[12:13]
	s_delay_alu instid0(VALU_DEP_2) | instskip(NEXT) | instid1(VALU_DEP_1)
	v_dual_cndmask_b32 v7, v7, v9 :: v_dual_cndmask_b32 v6, v6, v8
	v_add_co_u32 v8, vcc_lo, v6, 1
	s_delay_alu instid0(VALU_DEP_2) | instskip(SKIP_2) | instid1(VALU_DEP_2)
	v_add_co_ci_u32_e32 v9, vcc_lo, 0, v7, vcc_lo
	s_waitcnt vmcnt(0)
	v_cmp_neq_f64_e32 vcc_lo, 0, v[14:15]
	v_dual_cndmask_b32 v7, v7, v9 :: v_dual_cndmask_b32 v6, v6, v8
	s_delay_alu instid0(VALU_DEP_1)
	v_dual_mov_b32 v15, v7 :: v_dual_mov_b32 v14, v6
	v_dual_mov_b32 v13, v5 :: v_dual_mov_b32 v12, v4
	;; [unrolled: 1-line block ×4, first 2 shown]
	s_branch .LBB18_2
.LBB18_27:
	s_or_b32 exec_lo, exec_lo, s8
.LBB18_28:
	s_delay_alu instid0(SALU_CYCLE_1) | instskip(SKIP_1) | instid1(SALU_CYCLE_1)
	s_or_b32 exec_lo, exec_lo, s24
	s_sub_i32 s0, s18, s19
	s_cmp_lt_i32 s0, 1
	s_cbranch_scc1 .LBB18_126
; %bb.29:
	v_mov_b32_e32 v17, 0
	s_cmp_eq_u32 s16, 1
	v_ashrrev_i32_e32 v19, 31, v18
	s_cselect_b32 s1, -1, 0
	s_cmp_lg_u32 s16, 1
	v_lshlrev_b64 v[8:9], 3, v[16:17]
	s_mov_b32 s2, exec_lo
	s_delay_alu instid0(VALU_DEP_1) | instskip(NEXT) | instid1(VALU_DEP_1)
	v_add_co_u32 v12, s0, s20, v8
	v_add_co_ci_u32_e64 v13, s0, s21, v9, s0
	s_cselect_b32 s0, -1, 0
	v_cmpx_gt_i32_e64 s17, v18
	s_cbranch_execnz .LBB18_33
; %bb.30:
	s_or_b32 exec_lo, exec_lo, s2
	s_delay_alu instid0(SALU_CYCLE_1)
	s_mov_b32 s2, exec_lo
	v_cmpx_gt_i32_e64 s17, v24
	s_cbranch_execnz .LBB18_56
.LBB18_31:
	s_or_b32 exec_lo, exec_lo, s2
	s_delay_alu instid0(SALU_CYCLE_1)
	s_mov_b32 s2, exec_lo
	v_cmpx_gt_i32_e64 s17, v23
	s_cbranch_execnz .LBB18_79
.LBB18_32:
	s_or_b32 exec_lo, exec_lo, s2
	s_delay_alu instid0(SALU_CYCLE_1)
	s_mov_b32 s2, exec_lo
	v_cmpx_gt_i32_e64 s17, v22
	s_cbranch_execnz .LBB18_102
	s_branch .LBB18_125
.LBB18_33:
	v_mul_lo_u32 v10, v18, s23
	v_mul_lo_u32 v11, v19, s22
	v_mad_u64_u32 v[8:9], null, v18, s22, 0
	s_mov_b32 s3, exec_lo
	s_delay_alu instid0(VALU_DEP_1) | instskip(SKIP_1) | instid1(VALU_DEP_2)
	v_add3_u32 v9, v9, v10, v11
	v_lshlrev_b64 v[10:11], 3, v[18:19]
	v_lshlrev_b64 v[8:9], 3, v[8:9]
	s_delay_alu instid0(VALU_DEP_2) | instskip(NEXT) | instid1(VALU_DEP_3)
	v_add_co_u32 v14, vcc_lo, s20, v10
	v_add_co_ci_u32_e32 v15, vcc_lo, s21, v11, vcc_lo
	s_delay_alu instid0(VALU_DEP_3) | instskip(NEXT) | instid1(VALU_DEP_4)
	v_add_co_u32 v8, vcc_lo, v12, v8
	v_add_co_ci_u32_e32 v9, vcc_lo, v13, v9, vcc_lo
	v_cmpx_gt_i32_e64 s18, v16
	s_cbranch_execz .LBB18_37
; %bb.34:
	s_delay_alu instid0(VALU_DEP_2)
	v_dual_mov_b32 v11, v9 :: v_dual_mov_b32 v10, v8
	s_and_not1_b32 vcc_lo, exec_lo, s1
	s_cbranch_vccnz .LBB18_36
; %bb.35:
	v_mad_u64_u32 v[10:11], null, v16, s22, 0
	s_delay_alu instid0(VALU_DEP_1) | instskip(NEXT) | instid1(VALU_DEP_1)
	v_mad_u64_u32 v[25:26], null, v16, s23, v[11:12]
	v_mov_b32_e32 v11, v25
	s_delay_alu instid0(VALU_DEP_1) | instskip(NEXT) | instid1(VALU_DEP_1)
	v_lshlrev_b64 v[10:11], 3, v[10:11]
	v_add_co_u32 v10, vcc_lo, v14, v10
	s_delay_alu instid0(VALU_DEP_2)
	v_add_co_ci_u32_e32 v11, vcc_lo, v15, v11, vcc_lo
.LBB18_36:
	global_load_b64 v[10:11], v[10:11], off
	s_waitcnt vmcnt(0)
	v_cmp_neq_f64_e32 vcc_lo, 0, v[10:11]
	v_cndmask_b32_e64 v10, 0, 1, vcc_lo
	s_delay_alu instid0(VALU_DEP_1)
	v_add_co_u32 v0, vcc_lo, v0, v10
	v_add_co_ci_u32_e32 v1, vcc_lo, 0, v1, vcc_lo
.LBB18_37:
	s_or_b32 exec_lo, exec_lo, s3
	v_or_b32_e32 v17, 1, v16
	s_mov_b32 s3, exec_lo
	s_delay_alu instid0(VALU_DEP_1)
	v_cmpx_gt_i32_e64 s18, v17
	s_cbranch_execz .LBB18_43
; %bb.38:
	s_and_not1_b32 vcc_lo, exec_lo, s0
	s_cbranch_vccnz .LBB18_40
; %bb.39:
	v_add_co_u32 v10, vcc_lo, v8, 8
	v_add_co_ci_u32_e32 v11, vcc_lo, 0, v9, vcc_lo
	s_cbranch_execz .LBB18_41
	s_branch .LBB18_42
.LBB18_40:
                                        ; implicit-def: $vgpr10_vgpr11
.LBB18_41:
	v_mad_u64_u32 v[10:11], null, v17, s22, 0
	s_delay_alu instid0(VALU_DEP_1) | instskip(NEXT) | instid1(VALU_DEP_1)
	v_mad_u64_u32 v[25:26], null, v17, s23, v[11:12]
	v_mov_b32_e32 v11, v25
	s_delay_alu instid0(VALU_DEP_1) | instskip(NEXT) | instid1(VALU_DEP_1)
	v_lshlrev_b64 v[10:11], 3, v[10:11]
	v_add_co_u32 v10, vcc_lo, v14, v10
	s_delay_alu instid0(VALU_DEP_2)
	v_add_co_ci_u32_e32 v11, vcc_lo, v15, v11, vcc_lo
.LBB18_42:
	global_load_b64 v[10:11], v[10:11], off
	s_waitcnt vmcnt(0)
	v_cmp_neq_f64_e32 vcc_lo, 0, v[10:11]
	v_cndmask_b32_e64 v10, 0, 1, vcc_lo
	s_delay_alu instid0(VALU_DEP_1)
	v_add_co_u32 v0, vcc_lo, v0, v10
	v_add_co_ci_u32_e32 v1, vcc_lo, 0, v1, vcc_lo
.LBB18_43:
	s_or_b32 exec_lo, exec_lo, s3
	v_or_b32_e32 v17, 2, v16
	s_mov_b32 s3, exec_lo
	s_delay_alu instid0(VALU_DEP_1)
	v_cmpx_gt_i32_e64 s18, v17
	s_cbranch_execz .LBB18_49
; %bb.44:
	s_and_not1_b32 vcc_lo, exec_lo, s0
	s_cbranch_vccnz .LBB18_46
; %bb.45:
	v_add_co_u32 v10, vcc_lo, v8, 16
	v_add_co_ci_u32_e32 v11, vcc_lo, 0, v9, vcc_lo
	s_cbranch_execz .LBB18_47
	s_branch .LBB18_48
.LBB18_46:
                                        ; implicit-def: $vgpr10_vgpr11
.LBB18_47:
	v_mad_u64_u32 v[10:11], null, v17, s22, 0
	s_delay_alu instid0(VALU_DEP_1) | instskip(NEXT) | instid1(VALU_DEP_1)
	v_mad_u64_u32 v[25:26], null, v17, s23, v[11:12]
	v_mov_b32_e32 v11, v25
	s_delay_alu instid0(VALU_DEP_1) | instskip(NEXT) | instid1(VALU_DEP_1)
	v_lshlrev_b64 v[10:11], 3, v[10:11]
	v_add_co_u32 v10, vcc_lo, v14, v10
	s_delay_alu instid0(VALU_DEP_2)
	v_add_co_ci_u32_e32 v11, vcc_lo, v15, v11, vcc_lo
.LBB18_48:
	global_load_b64 v[10:11], v[10:11], off
	s_waitcnt vmcnt(0)
	v_cmp_neq_f64_e32 vcc_lo, 0, v[10:11]
	v_cndmask_b32_e64 v10, 0, 1, vcc_lo
	s_delay_alu instid0(VALU_DEP_1)
	v_add_co_u32 v0, vcc_lo, v0, v10
	v_add_co_ci_u32_e32 v1, vcc_lo, 0, v1, vcc_lo
.LBB18_49:
	s_or_b32 exec_lo, exec_lo, s3
	v_or_b32_e32 v10, 3, v16
	s_mov_b32 s3, exec_lo
	s_delay_alu instid0(VALU_DEP_1)
	v_cmpx_gt_i32_e64 s18, v10
	s_cbranch_execz .LBB18_55
; %bb.50:
	s_and_not1_b32 vcc_lo, exec_lo, s0
	s_cbranch_vccnz .LBB18_52
; %bb.51:
	v_add_co_u32 v8, vcc_lo, v8, 24
	v_add_co_ci_u32_e32 v9, vcc_lo, 0, v9, vcc_lo
	s_cbranch_execz .LBB18_53
	s_branch .LBB18_54
.LBB18_52:
                                        ; implicit-def: $vgpr8_vgpr9
.LBB18_53:
	v_mad_u64_u32 v[8:9], null, v10, s22, 0
	s_delay_alu instid0(VALU_DEP_1) | instskip(NEXT) | instid1(VALU_DEP_1)
	v_mad_u64_u32 v[25:26], null, v10, s23, v[9:10]
	v_mov_b32_e32 v9, v25
	s_delay_alu instid0(VALU_DEP_1) | instskip(NEXT) | instid1(VALU_DEP_1)
	v_lshlrev_b64 v[8:9], 3, v[8:9]
	v_add_co_u32 v8, vcc_lo, v14, v8
	s_delay_alu instid0(VALU_DEP_2)
	v_add_co_ci_u32_e32 v9, vcc_lo, v15, v9, vcc_lo
.LBB18_54:
	global_load_b64 v[8:9], v[8:9], off
	s_waitcnt vmcnt(0)
	v_cmp_neq_f64_e32 vcc_lo, 0, v[8:9]
	v_cndmask_b32_e64 v8, 0, 1, vcc_lo
	s_delay_alu instid0(VALU_DEP_1)
	v_add_co_u32 v0, vcc_lo, v0, v8
	v_add_co_ci_u32_e32 v1, vcc_lo, 0, v1, vcc_lo
.LBB18_55:
	s_or_b32 exec_lo, exec_lo, s3
	s_delay_alu instid0(SALU_CYCLE_1) | instskip(NEXT) | instid1(SALU_CYCLE_1)
	s_or_b32 exec_lo, exec_lo, s2
	s_mov_b32 s2, exec_lo
	v_cmpx_gt_i32_e64 s17, v24
	s_cbranch_execz .LBB18_31
.LBB18_56:
	v_ashrrev_i32_e32 v10, 31, v24
	v_mul_lo_u32 v11, v24, s23
	v_mad_u64_u32 v[8:9], null, v24, s22, 0
	s_mov_b32 s3, exec_lo
	s_delay_alu instid0(VALU_DEP_3) | instskip(NEXT) | instid1(VALU_DEP_1)
	v_mul_lo_u32 v10, v10, s22
	v_add3_u32 v9, v9, v11, v10
	v_lshlrev_b64 v[10:11], 3, v[18:19]
	s_delay_alu instid0(VALU_DEP_2) | instskip(NEXT) | instid1(VALU_DEP_2)
	v_lshlrev_b64 v[8:9], 3, v[8:9]
	v_add_co_u32 v14, vcc_lo, s20, v10
	s_delay_alu instid0(VALU_DEP_3) | instskip(NEXT) | instid1(VALU_DEP_3)
	v_add_co_ci_u32_e32 v15, vcc_lo, s21, v11, vcc_lo
	v_add_co_u32 v8, vcc_lo, v12, v8
	s_delay_alu instid0(VALU_DEP_4)
	v_add_co_ci_u32_e32 v9, vcc_lo, v13, v9, vcc_lo
	v_cmpx_gt_i32_e64 s18, v16
	s_cbranch_execz .LBB18_60
; %bb.57:
	s_delay_alu instid0(VALU_DEP_2)
	v_dual_mov_b32 v11, v9 :: v_dual_mov_b32 v10, v8
	s_and_not1_b32 vcc_lo, exec_lo, s1
	s_cbranch_vccnz .LBB18_59
; %bb.58:
	v_mad_u64_u32 v[10:11], null, v16, s22, 0
	s_delay_alu instid0(VALU_DEP_1) | instskip(NEXT) | instid1(VALU_DEP_1)
	v_mad_u64_u32 v[24:25], null, v16, s23, v[11:12]
	v_mov_b32_e32 v11, v24
	s_delay_alu instid0(VALU_DEP_1) | instskip(NEXT) | instid1(VALU_DEP_1)
	v_lshlrev_b64 v[10:11], 3, v[10:11]
	v_add_co_u32 v10, vcc_lo, v14, v10
	s_delay_alu instid0(VALU_DEP_2) | instskip(NEXT) | instid1(VALU_DEP_2)
	v_add_co_ci_u32_e32 v11, vcc_lo, v15, v11, vcc_lo
	v_add_co_u32 v10, vcc_lo, 0x200, v10
	s_delay_alu instid0(VALU_DEP_2)
	v_add_co_ci_u32_e32 v11, vcc_lo, 0, v11, vcc_lo
.LBB18_59:
	global_load_b64 v[10:11], v[10:11], off
	s_waitcnt vmcnt(0)
	v_cmp_neq_f64_e32 vcc_lo, 0, v[10:11]
	v_cndmask_b32_e64 v10, 0, 1, vcc_lo
	s_delay_alu instid0(VALU_DEP_1)
	v_add_co_u32 v2, vcc_lo, v2, v10
	v_add_co_ci_u32_e32 v3, vcc_lo, 0, v3, vcc_lo
.LBB18_60:
	s_or_b32 exec_lo, exec_lo, s3
	v_or_b32_e32 v17, 1, v16
	s_mov_b32 s3, exec_lo
	s_delay_alu instid0(VALU_DEP_1)
	v_cmpx_gt_i32_e64 s18, v17
	s_cbranch_execz .LBB18_66
; %bb.61:
	s_and_not1_b32 vcc_lo, exec_lo, s0
	s_cbranch_vccnz .LBB18_63
; %bb.62:
	v_add_co_u32 v10, vcc_lo, v8, 8
	v_add_co_ci_u32_e32 v11, vcc_lo, 0, v9, vcc_lo
	s_cbranch_execz .LBB18_64
	s_branch .LBB18_65
.LBB18_63:
                                        ; implicit-def: $vgpr10_vgpr11
.LBB18_64:
	v_mad_u64_u32 v[10:11], null, v17, s22, 0
	s_delay_alu instid0(VALU_DEP_1) | instskip(NEXT) | instid1(VALU_DEP_1)
	v_mad_u64_u32 v[24:25], null, v17, s23, v[11:12]
	v_mov_b32_e32 v11, v24
	s_delay_alu instid0(VALU_DEP_1) | instskip(NEXT) | instid1(VALU_DEP_1)
	v_lshlrev_b64 v[10:11], 3, v[10:11]
	v_add_co_u32 v10, vcc_lo, v14, v10
	s_delay_alu instid0(VALU_DEP_2) | instskip(NEXT) | instid1(VALU_DEP_2)
	v_add_co_ci_u32_e32 v11, vcc_lo, v15, v11, vcc_lo
	v_add_co_u32 v10, vcc_lo, 0x200, v10
	s_delay_alu instid0(VALU_DEP_2)
	v_add_co_ci_u32_e32 v11, vcc_lo, 0, v11, vcc_lo
.LBB18_65:
	global_load_b64 v[10:11], v[10:11], off
	s_waitcnt vmcnt(0)
	v_cmp_neq_f64_e32 vcc_lo, 0, v[10:11]
	v_cndmask_b32_e64 v10, 0, 1, vcc_lo
	s_delay_alu instid0(VALU_DEP_1)
	v_add_co_u32 v2, vcc_lo, v2, v10
	v_add_co_ci_u32_e32 v3, vcc_lo, 0, v3, vcc_lo
.LBB18_66:
	s_or_b32 exec_lo, exec_lo, s3
	v_or_b32_e32 v17, 2, v16
	s_mov_b32 s3, exec_lo
	s_delay_alu instid0(VALU_DEP_1)
	v_cmpx_gt_i32_e64 s18, v17
	s_cbranch_execz .LBB18_72
; %bb.67:
	s_and_not1_b32 vcc_lo, exec_lo, s0
	s_cbranch_vccnz .LBB18_69
; %bb.68:
	v_add_co_u32 v10, vcc_lo, v8, 16
	v_add_co_ci_u32_e32 v11, vcc_lo, 0, v9, vcc_lo
	s_cbranch_execz .LBB18_70
	s_branch .LBB18_71
.LBB18_69:
                                        ; implicit-def: $vgpr10_vgpr11
.LBB18_70:
	v_mad_u64_u32 v[10:11], null, v17, s22, 0
	s_delay_alu instid0(VALU_DEP_1) | instskip(NEXT) | instid1(VALU_DEP_1)
	v_mad_u64_u32 v[24:25], null, v17, s23, v[11:12]
	v_mov_b32_e32 v11, v24
	s_delay_alu instid0(VALU_DEP_1) | instskip(NEXT) | instid1(VALU_DEP_1)
	v_lshlrev_b64 v[10:11], 3, v[10:11]
	v_add_co_u32 v10, vcc_lo, v14, v10
	s_delay_alu instid0(VALU_DEP_2) | instskip(NEXT) | instid1(VALU_DEP_2)
	v_add_co_ci_u32_e32 v11, vcc_lo, v15, v11, vcc_lo
	v_add_co_u32 v10, vcc_lo, 0x200, v10
	s_delay_alu instid0(VALU_DEP_2)
	v_add_co_ci_u32_e32 v11, vcc_lo, 0, v11, vcc_lo
.LBB18_71:
	global_load_b64 v[10:11], v[10:11], off
	s_waitcnt vmcnt(0)
	v_cmp_neq_f64_e32 vcc_lo, 0, v[10:11]
	v_cndmask_b32_e64 v10, 0, 1, vcc_lo
	s_delay_alu instid0(VALU_DEP_1)
	v_add_co_u32 v2, vcc_lo, v2, v10
	v_add_co_ci_u32_e32 v3, vcc_lo, 0, v3, vcc_lo
.LBB18_72:
	s_or_b32 exec_lo, exec_lo, s3
	v_or_b32_e32 v10, 3, v16
	s_mov_b32 s3, exec_lo
	s_delay_alu instid0(VALU_DEP_1)
	v_cmpx_gt_i32_e64 s18, v10
	s_cbranch_execz .LBB18_78
; %bb.73:
	s_and_not1_b32 vcc_lo, exec_lo, s0
	s_cbranch_vccnz .LBB18_75
; %bb.74:
	v_add_co_u32 v8, vcc_lo, v8, 24
	v_add_co_ci_u32_e32 v9, vcc_lo, 0, v9, vcc_lo
	s_cbranch_execz .LBB18_76
	s_branch .LBB18_77
.LBB18_75:
                                        ; implicit-def: $vgpr8_vgpr9
.LBB18_76:
	v_mad_u64_u32 v[8:9], null, v10, s22, 0
	s_delay_alu instid0(VALU_DEP_1) | instskip(NEXT) | instid1(VALU_DEP_1)
	v_mad_u64_u32 v[24:25], null, v10, s23, v[9:10]
	v_mov_b32_e32 v9, v24
	s_delay_alu instid0(VALU_DEP_1) | instskip(NEXT) | instid1(VALU_DEP_1)
	v_lshlrev_b64 v[8:9], 3, v[8:9]
	v_add_co_u32 v8, vcc_lo, v14, v8
	s_delay_alu instid0(VALU_DEP_2) | instskip(NEXT) | instid1(VALU_DEP_2)
	v_add_co_ci_u32_e32 v9, vcc_lo, v15, v9, vcc_lo
	v_add_co_u32 v8, vcc_lo, 0x200, v8
	s_delay_alu instid0(VALU_DEP_2)
	v_add_co_ci_u32_e32 v9, vcc_lo, 0, v9, vcc_lo
.LBB18_77:
	global_load_b64 v[8:9], v[8:9], off
	s_waitcnt vmcnt(0)
	v_cmp_neq_f64_e32 vcc_lo, 0, v[8:9]
	v_cndmask_b32_e64 v8, 0, 1, vcc_lo
	s_delay_alu instid0(VALU_DEP_1)
	v_add_co_u32 v2, vcc_lo, v2, v8
	v_add_co_ci_u32_e32 v3, vcc_lo, 0, v3, vcc_lo
.LBB18_78:
	s_or_b32 exec_lo, exec_lo, s3
	s_delay_alu instid0(SALU_CYCLE_1) | instskip(NEXT) | instid1(SALU_CYCLE_1)
	s_or_b32 exec_lo, exec_lo, s2
	s_mov_b32 s2, exec_lo
	v_cmpx_gt_i32_e64 s17, v23
	s_cbranch_execz .LBB18_32
.LBB18_79:
	v_ashrrev_i32_e32 v10, 31, v23
	v_mul_lo_u32 v11, v23, s23
	v_mad_u64_u32 v[8:9], null, v23, s22, 0
	s_mov_b32 s3, exec_lo
	s_delay_alu instid0(VALU_DEP_3) | instskip(NEXT) | instid1(VALU_DEP_1)
	v_mul_lo_u32 v10, v10, s22
	v_add3_u32 v9, v9, v11, v10
	v_lshlrev_b64 v[10:11], 3, v[18:19]
	s_delay_alu instid0(VALU_DEP_2) | instskip(NEXT) | instid1(VALU_DEP_2)
	v_lshlrev_b64 v[8:9], 3, v[8:9]
	v_add_co_u32 v14, vcc_lo, s20, v10
	s_delay_alu instid0(VALU_DEP_3) | instskip(NEXT) | instid1(VALU_DEP_3)
	v_add_co_ci_u32_e32 v15, vcc_lo, s21, v11, vcc_lo
	v_add_co_u32 v8, vcc_lo, v12, v8
	s_delay_alu instid0(VALU_DEP_4)
	v_add_co_ci_u32_e32 v9, vcc_lo, v13, v9, vcc_lo
	v_cmpx_gt_i32_e64 s18, v16
	s_cbranch_execz .LBB18_83
; %bb.80:
	s_delay_alu instid0(VALU_DEP_2)
	v_dual_mov_b32 v11, v9 :: v_dual_mov_b32 v10, v8
	s_and_not1_b32 vcc_lo, exec_lo, s1
	s_cbranch_vccnz .LBB18_82
; %bb.81:
	v_mad_u64_u32 v[10:11], null, v16, s22, 0
	s_delay_alu instid0(VALU_DEP_1) | instskip(NEXT) | instid1(VALU_DEP_1)
	v_mad_u64_u32 v[23:24], null, v16, s23, v[11:12]
	v_mov_b32_e32 v11, v23
	s_delay_alu instid0(VALU_DEP_1) | instskip(NEXT) | instid1(VALU_DEP_1)
	v_lshlrev_b64 v[10:11], 3, v[10:11]
	v_add_co_u32 v10, vcc_lo, v14, v10
	s_delay_alu instid0(VALU_DEP_2) | instskip(NEXT) | instid1(VALU_DEP_2)
	v_add_co_ci_u32_e32 v11, vcc_lo, v15, v11, vcc_lo
	v_add_co_u32 v10, vcc_lo, 0x400, v10
	s_delay_alu instid0(VALU_DEP_2)
	v_add_co_ci_u32_e32 v11, vcc_lo, 0, v11, vcc_lo
.LBB18_82:
	global_load_b64 v[10:11], v[10:11], off
	s_waitcnt vmcnt(0)
	v_cmp_neq_f64_e32 vcc_lo, 0, v[10:11]
	v_cndmask_b32_e64 v10, 0, 1, vcc_lo
	s_delay_alu instid0(VALU_DEP_1)
	v_add_co_u32 v4, vcc_lo, v4, v10
	v_add_co_ci_u32_e32 v5, vcc_lo, 0, v5, vcc_lo
.LBB18_83:
	s_or_b32 exec_lo, exec_lo, s3
	v_or_b32_e32 v17, 1, v16
	s_mov_b32 s3, exec_lo
	s_delay_alu instid0(VALU_DEP_1)
	v_cmpx_gt_i32_e64 s18, v17
	s_cbranch_execz .LBB18_89
; %bb.84:
	s_and_not1_b32 vcc_lo, exec_lo, s0
	s_cbranch_vccnz .LBB18_86
; %bb.85:
	v_add_co_u32 v10, vcc_lo, v8, 8
	v_add_co_ci_u32_e32 v11, vcc_lo, 0, v9, vcc_lo
	s_cbranch_execz .LBB18_87
	s_branch .LBB18_88
.LBB18_86:
                                        ; implicit-def: $vgpr10_vgpr11
.LBB18_87:
	v_mad_u64_u32 v[10:11], null, v17, s22, 0
	s_delay_alu instid0(VALU_DEP_1) | instskip(NEXT) | instid1(VALU_DEP_1)
	v_mad_u64_u32 v[23:24], null, v17, s23, v[11:12]
	v_mov_b32_e32 v11, v23
	s_delay_alu instid0(VALU_DEP_1) | instskip(NEXT) | instid1(VALU_DEP_1)
	v_lshlrev_b64 v[10:11], 3, v[10:11]
	v_add_co_u32 v10, vcc_lo, v14, v10
	s_delay_alu instid0(VALU_DEP_2) | instskip(NEXT) | instid1(VALU_DEP_2)
	v_add_co_ci_u32_e32 v11, vcc_lo, v15, v11, vcc_lo
	v_add_co_u32 v10, vcc_lo, 0x400, v10
	s_delay_alu instid0(VALU_DEP_2)
	v_add_co_ci_u32_e32 v11, vcc_lo, 0, v11, vcc_lo
.LBB18_88:
	global_load_b64 v[10:11], v[10:11], off
	s_waitcnt vmcnt(0)
	v_cmp_neq_f64_e32 vcc_lo, 0, v[10:11]
	v_cndmask_b32_e64 v10, 0, 1, vcc_lo
	s_delay_alu instid0(VALU_DEP_1)
	v_add_co_u32 v4, vcc_lo, v4, v10
	v_add_co_ci_u32_e32 v5, vcc_lo, 0, v5, vcc_lo
.LBB18_89:
	s_or_b32 exec_lo, exec_lo, s3
	v_or_b32_e32 v17, 2, v16
	s_mov_b32 s3, exec_lo
	s_delay_alu instid0(VALU_DEP_1)
	v_cmpx_gt_i32_e64 s18, v17
	s_cbranch_execz .LBB18_95
; %bb.90:
	s_and_not1_b32 vcc_lo, exec_lo, s0
	s_cbranch_vccnz .LBB18_92
; %bb.91:
	v_add_co_u32 v10, vcc_lo, v8, 16
	v_add_co_ci_u32_e32 v11, vcc_lo, 0, v9, vcc_lo
	s_cbranch_execz .LBB18_93
	s_branch .LBB18_94
.LBB18_92:
                                        ; implicit-def: $vgpr10_vgpr11
.LBB18_93:
	v_mad_u64_u32 v[10:11], null, v17, s22, 0
	s_delay_alu instid0(VALU_DEP_1) | instskip(NEXT) | instid1(VALU_DEP_1)
	v_mad_u64_u32 v[23:24], null, v17, s23, v[11:12]
	v_mov_b32_e32 v11, v23
	s_delay_alu instid0(VALU_DEP_1) | instskip(NEXT) | instid1(VALU_DEP_1)
	v_lshlrev_b64 v[10:11], 3, v[10:11]
	v_add_co_u32 v10, vcc_lo, v14, v10
	s_delay_alu instid0(VALU_DEP_2) | instskip(NEXT) | instid1(VALU_DEP_2)
	v_add_co_ci_u32_e32 v11, vcc_lo, v15, v11, vcc_lo
	v_add_co_u32 v10, vcc_lo, 0x400, v10
	s_delay_alu instid0(VALU_DEP_2)
	v_add_co_ci_u32_e32 v11, vcc_lo, 0, v11, vcc_lo
.LBB18_94:
	global_load_b64 v[10:11], v[10:11], off
	s_waitcnt vmcnt(0)
	v_cmp_neq_f64_e32 vcc_lo, 0, v[10:11]
	v_cndmask_b32_e64 v10, 0, 1, vcc_lo
	s_delay_alu instid0(VALU_DEP_1)
	v_add_co_u32 v4, vcc_lo, v4, v10
	v_add_co_ci_u32_e32 v5, vcc_lo, 0, v5, vcc_lo
.LBB18_95:
	s_or_b32 exec_lo, exec_lo, s3
	v_or_b32_e32 v10, 3, v16
	s_mov_b32 s3, exec_lo
	s_delay_alu instid0(VALU_DEP_1)
	v_cmpx_gt_i32_e64 s18, v10
	s_cbranch_execz .LBB18_101
; %bb.96:
	s_and_not1_b32 vcc_lo, exec_lo, s0
	s_cbranch_vccnz .LBB18_98
; %bb.97:
	v_add_co_u32 v8, vcc_lo, v8, 24
	v_add_co_ci_u32_e32 v9, vcc_lo, 0, v9, vcc_lo
	s_cbranch_execz .LBB18_99
	s_branch .LBB18_100
.LBB18_98:
                                        ; implicit-def: $vgpr8_vgpr9
.LBB18_99:
	v_mad_u64_u32 v[8:9], null, v10, s22, 0
	s_delay_alu instid0(VALU_DEP_1) | instskip(NEXT) | instid1(VALU_DEP_1)
	v_mad_u64_u32 v[23:24], null, v10, s23, v[9:10]
	v_mov_b32_e32 v9, v23
	s_delay_alu instid0(VALU_DEP_1) | instskip(NEXT) | instid1(VALU_DEP_1)
	v_lshlrev_b64 v[8:9], 3, v[8:9]
	v_add_co_u32 v8, vcc_lo, v14, v8
	s_delay_alu instid0(VALU_DEP_2) | instskip(NEXT) | instid1(VALU_DEP_2)
	v_add_co_ci_u32_e32 v9, vcc_lo, v15, v9, vcc_lo
	v_add_co_u32 v8, vcc_lo, 0x400, v8
	s_delay_alu instid0(VALU_DEP_2)
	v_add_co_ci_u32_e32 v9, vcc_lo, 0, v9, vcc_lo
.LBB18_100:
	global_load_b64 v[8:9], v[8:9], off
	s_waitcnt vmcnt(0)
	v_cmp_neq_f64_e32 vcc_lo, 0, v[8:9]
	v_cndmask_b32_e64 v8, 0, 1, vcc_lo
	s_delay_alu instid0(VALU_DEP_1)
	v_add_co_u32 v4, vcc_lo, v4, v8
	v_add_co_ci_u32_e32 v5, vcc_lo, 0, v5, vcc_lo
.LBB18_101:
	s_or_b32 exec_lo, exec_lo, s3
	s_delay_alu instid0(SALU_CYCLE_1) | instskip(NEXT) | instid1(SALU_CYCLE_1)
	s_or_b32 exec_lo, exec_lo, s2
	s_mov_b32 s2, exec_lo
	v_cmpx_gt_i32_e64 s17, v22
	s_cbranch_execz .LBB18_125
.LBB18_102:
	v_ashrrev_i32_e32 v10, 31, v22
	v_mul_lo_u32 v11, v22, s23
	v_mad_u64_u32 v[8:9], null, v22, s22, 0
	s_mov_b32 s3, exec_lo
	s_delay_alu instid0(VALU_DEP_3) | instskip(NEXT) | instid1(VALU_DEP_1)
	v_mul_lo_u32 v10, v10, s22
	v_add3_u32 v9, v9, v11, v10
	v_lshlrev_b64 v[10:11], 3, v[18:19]
	s_delay_alu instid0(VALU_DEP_2) | instskip(NEXT) | instid1(VALU_DEP_2)
	v_lshlrev_b64 v[8:9], 3, v[8:9]
	v_add_co_u32 v14, vcc_lo, s20, v10
	s_delay_alu instid0(VALU_DEP_3) | instskip(NEXT) | instid1(VALU_DEP_3)
	v_add_co_ci_u32_e32 v15, vcc_lo, s21, v11, vcc_lo
	v_add_co_u32 v8, vcc_lo, v12, v8
	s_delay_alu instid0(VALU_DEP_4)
	v_add_co_ci_u32_e32 v9, vcc_lo, v13, v9, vcc_lo
	v_cmpx_gt_i32_e64 s18, v16
	s_cbranch_execz .LBB18_106
; %bb.103:
	s_delay_alu instid0(VALU_DEP_2)
	v_dual_mov_b32 v11, v9 :: v_dual_mov_b32 v10, v8
	s_and_not1_b32 vcc_lo, exec_lo, s1
	s_cbranch_vccnz .LBB18_105
; %bb.104:
	v_mad_u64_u32 v[10:11], null, v16, s22, 0
	s_delay_alu instid0(VALU_DEP_1) | instskip(NEXT) | instid1(VALU_DEP_1)
	v_mad_u64_u32 v[12:13], null, v16, s23, v[11:12]
	v_mov_b32_e32 v11, v12
	s_delay_alu instid0(VALU_DEP_1) | instskip(NEXT) | instid1(VALU_DEP_1)
	v_lshlrev_b64 v[10:11], 3, v[10:11]
	v_add_co_u32 v10, vcc_lo, v14, v10
	s_delay_alu instid0(VALU_DEP_2) | instskip(NEXT) | instid1(VALU_DEP_2)
	v_add_co_ci_u32_e32 v11, vcc_lo, v15, v11, vcc_lo
	v_add_co_u32 v10, vcc_lo, 0x600, v10
	s_delay_alu instid0(VALU_DEP_2)
	v_add_co_ci_u32_e32 v11, vcc_lo, 0, v11, vcc_lo
.LBB18_105:
	global_load_b64 v[10:11], v[10:11], off
	s_waitcnt vmcnt(0)
	v_cmp_neq_f64_e32 vcc_lo, 0, v[10:11]
	v_cndmask_b32_e64 v10, 0, 1, vcc_lo
	s_delay_alu instid0(VALU_DEP_1)
	v_add_co_u32 v6, vcc_lo, v6, v10
	v_add_co_ci_u32_e32 v7, vcc_lo, 0, v7, vcc_lo
.LBB18_106:
	s_or_b32 exec_lo, exec_lo, s3
	v_or_b32_e32 v13, 1, v16
	v_cndmask_b32_e64 v12, 0, 1, s0
	s_mov_b32 s1, exec_lo
	s_delay_alu instid0(VALU_DEP_2)
	v_cmpx_gt_i32_e64 s18, v13
	s_cbranch_execz .LBB18_112
; %bb.107:
	s_and_not1_b32 vcc_lo, exec_lo, s0
	s_cbranch_vccnz .LBB18_109
; %bb.108:
	v_add_co_u32 v10, vcc_lo, v8, 8
	v_add_co_ci_u32_e32 v11, vcc_lo, 0, v9, vcc_lo
	s_cbranch_execz .LBB18_110
	s_branch .LBB18_111
.LBB18_109:
                                        ; implicit-def: $vgpr10_vgpr11
.LBB18_110:
	v_mad_u64_u32 v[10:11], null, v13, s22, 0
	s_delay_alu instid0(VALU_DEP_1) | instskip(NEXT) | instid1(VALU_DEP_1)
	v_mad_u64_u32 v[17:18], null, v13, s23, v[11:12]
	v_mov_b32_e32 v11, v17
	s_delay_alu instid0(VALU_DEP_1) | instskip(NEXT) | instid1(VALU_DEP_1)
	v_lshlrev_b64 v[10:11], 3, v[10:11]
	v_add_co_u32 v10, vcc_lo, v14, v10
	s_delay_alu instid0(VALU_DEP_2) | instskip(NEXT) | instid1(VALU_DEP_2)
	v_add_co_ci_u32_e32 v11, vcc_lo, v15, v11, vcc_lo
	v_add_co_u32 v10, vcc_lo, 0x600, v10
	s_delay_alu instid0(VALU_DEP_2)
	v_add_co_ci_u32_e32 v11, vcc_lo, 0, v11, vcc_lo
.LBB18_111:
	global_load_b64 v[10:11], v[10:11], off
	s_waitcnt vmcnt(0)
	v_cmp_neq_f64_e32 vcc_lo, 0, v[10:11]
	v_cndmask_b32_e64 v10, 0, 1, vcc_lo
	s_delay_alu instid0(VALU_DEP_1)
	v_add_co_u32 v6, vcc_lo, v6, v10
	v_add_co_ci_u32_e32 v7, vcc_lo, 0, v7, vcc_lo
.LBB18_112:
	s_or_b32 exec_lo, exec_lo, s1
	v_or_b32_e32 v13, 2, v16
	s_mov_b32 s0, exec_lo
	s_delay_alu instid0(VALU_DEP_1)
	v_cmpx_gt_i32_e64 s18, v13
	s_cbranch_execz .LBB18_118
; %bb.113:
	v_cmp_ne_u32_e32 vcc_lo, 1, v12
	s_cbranch_vccnz .LBB18_115
; %bb.114:
	v_add_co_u32 v10, vcc_lo, v8, 16
	v_add_co_ci_u32_e32 v11, vcc_lo, 0, v9, vcc_lo
	s_cbranch_execz .LBB18_116
	s_branch .LBB18_117
.LBB18_115:
                                        ; implicit-def: $vgpr10_vgpr11
.LBB18_116:
	v_mad_u64_u32 v[10:11], null, v13, s22, 0
	s_delay_alu instid0(VALU_DEP_1) | instskip(NEXT) | instid1(VALU_DEP_1)
	v_mad_u64_u32 v[17:18], null, v13, s23, v[11:12]
	v_mov_b32_e32 v11, v17
	s_delay_alu instid0(VALU_DEP_1) | instskip(NEXT) | instid1(VALU_DEP_1)
	v_lshlrev_b64 v[10:11], 3, v[10:11]
	v_add_co_u32 v10, vcc_lo, v14, v10
	s_delay_alu instid0(VALU_DEP_2) | instskip(NEXT) | instid1(VALU_DEP_2)
	v_add_co_ci_u32_e32 v11, vcc_lo, v15, v11, vcc_lo
	v_add_co_u32 v10, vcc_lo, 0x600, v10
	s_delay_alu instid0(VALU_DEP_2)
	v_add_co_ci_u32_e32 v11, vcc_lo, 0, v11, vcc_lo
.LBB18_117:
	global_load_b64 v[10:11], v[10:11], off
	s_waitcnt vmcnt(0)
	v_cmp_neq_f64_e32 vcc_lo, 0, v[10:11]
	v_cndmask_b32_e64 v10, 0, 1, vcc_lo
	s_delay_alu instid0(VALU_DEP_1)
	v_add_co_u32 v6, vcc_lo, v6, v10
	v_add_co_ci_u32_e32 v7, vcc_lo, 0, v7, vcc_lo
.LBB18_118:
	s_or_b32 exec_lo, exec_lo, s0
	v_or_b32_e32 v10, 3, v16
	s_mov_b32 s0, exec_lo
	s_delay_alu instid0(VALU_DEP_1)
	v_cmpx_gt_i32_e64 s18, v10
	s_cbranch_execz .LBB18_124
; %bb.119:
	v_cmp_ne_u32_e32 vcc_lo, 1, v12
	s_cbranch_vccnz .LBB18_121
; %bb.120:
	v_add_co_u32 v8, vcc_lo, v8, 24
	v_add_co_ci_u32_e32 v9, vcc_lo, 0, v9, vcc_lo
	s_cbranch_execz .LBB18_122
	s_branch .LBB18_123
.LBB18_121:
                                        ; implicit-def: $vgpr8_vgpr9
.LBB18_122:
	v_mad_u64_u32 v[8:9], null, v10, s22, 0
	s_delay_alu instid0(VALU_DEP_1) | instskip(NEXT) | instid1(VALU_DEP_1)
	v_mad_u64_u32 v[11:12], null, v10, s23, v[9:10]
	v_mov_b32_e32 v9, v11
	s_delay_alu instid0(VALU_DEP_1) | instskip(NEXT) | instid1(VALU_DEP_1)
	v_lshlrev_b64 v[8:9], 3, v[8:9]
	v_add_co_u32 v8, vcc_lo, v14, v8
	s_delay_alu instid0(VALU_DEP_2) | instskip(NEXT) | instid1(VALU_DEP_2)
	v_add_co_ci_u32_e32 v9, vcc_lo, v15, v9, vcc_lo
	v_add_co_u32 v8, vcc_lo, 0x600, v8
	s_delay_alu instid0(VALU_DEP_2)
	v_add_co_ci_u32_e32 v9, vcc_lo, 0, v9, vcc_lo
.LBB18_123:
	global_load_b64 v[8:9], v[8:9], off
	s_waitcnt vmcnt(0)
	v_cmp_neq_f64_e32 vcc_lo, 0, v[8:9]
	v_cndmask_b32_e64 v8, 0, 1, vcc_lo
	s_delay_alu instid0(VALU_DEP_1)
	v_add_co_u32 v6, vcc_lo, v6, v8
	v_add_co_ci_u32_e32 v7, vcc_lo, 0, v7, vcc_lo
.LBB18_124:
	s_or_b32 exec_lo, exec_lo, s0
.LBB18_125:
	s_delay_alu instid0(SALU_CYCLE_1)
	s_or_b32 exec_lo, exec_lo, s2
.LBB18_126:
	v_lshlrev_b32_e32 v8, 2, v20
	s_mov_b32 s0, exec_lo
	s_delay_alu instid0(VALU_DEP_1) | instskip(NEXT) | instid1(VALU_DEP_1)
	v_and_or_b32 v8, 0x1fffff00, v8, v21
	v_lshlrev_b32_e32 v8, 3, v8
	ds_store_2addr_stride64_b64 v8, v[0:1], v[2:3] offset1:1
	ds_store_2addr_stride64_b64 v8, v[4:5], v[6:7] offset0:2 offset1:3
	s_waitcnt lgkmcnt(0)
	s_barrier
	buffer_gl0_inv
	v_cmpx_gt_u32_e32 0x100, v20
	s_cbranch_execz .LBB18_129
; %bb.127:
	v_lshlrev_b32_e32 v12, 3, v20
	ds_load_2addr_stride64_b64 v[0:3], v12 offset1:4
	ds_load_2addr_stride64_b64 v[4:7], v12 offset0:8 offset1:12
	ds_load_2addr_stride64_b64 v[8:11], v12 offset0:16 offset1:20
	s_waitcnt lgkmcnt(2)
	v_add_co_u32 v13, vcc_lo, v0, v2
	v_add_co_ci_u32_e32 v14, vcc_lo, v1, v3, vcc_lo
	ds_load_2addr_stride64_b64 v[0:3], v12 offset0:24 offset1:28
	s_waitcnt lgkmcnt(2)
	v_add_co_u32 v4, vcc_lo, v13, v4
	v_add_co_ci_u32_e32 v5, vcc_lo, v14, v5, vcc_lo
	s_delay_alu instid0(VALU_DEP_2) | instskip(NEXT) | instid1(VALU_DEP_2)
	v_add_co_u32 v13, vcc_lo, v4, v6
	v_add_co_ci_u32_e32 v14, vcc_lo, v5, v7, vcc_lo
	ds_load_2addr_stride64_b64 v[4:7], v12 offset0:32 offset1:36
	s_waitcnt lgkmcnt(2)
	v_add_co_u32 v8, vcc_lo, v13, v8
	v_add_co_ci_u32_e32 v9, vcc_lo, v14, v9, vcc_lo
	s_delay_alu instid0(VALU_DEP_2) | instskip(NEXT) | instid1(VALU_DEP_2)
	;; [unrolled: 7-line block ×5, first 2 shown]
	v_add_co_u32 v8, vcc_lo, v8, v10
	v_add_co_ci_u32_e32 v9, vcc_lo, v9, v11, vcc_lo
	s_waitcnt lgkmcnt(1)
	s_delay_alu instid0(VALU_DEP_2) | instskip(NEXT) | instid1(VALU_DEP_2)
	v_add_co_u32 v0, vcc_lo, v8, v0
	v_add_co_ci_u32_e32 v1, vcc_lo, v9, v1, vcc_lo
	s_delay_alu instid0(VALU_DEP_2) | instskip(NEXT) | instid1(VALU_DEP_2)
	v_add_co_u32 v0, vcc_lo, v0, v2
	v_add_co_ci_u32_e32 v1, vcc_lo, v1, v3, vcc_lo
	v_add_nc_u32_e32 v2, s5, v20
	s_waitcnt lgkmcnt(0)
	s_delay_alu instid0(VALU_DEP_3) | instskip(NEXT) | instid1(VALU_DEP_3)
	v_add_co_u32 v0, vcc_lo, v0, v4
	v_add_co_ci_u32_e32 v1, vcc_lo, v1, v5, vcc_lo
	s_delay_alu instid0(VALU_DEP_2) | instskip(NEXT) | instid1(VALU_DEP_2)
	v_add_co_u32 v0, vcc_lo, v0, v6
	v_add_co_ci_u32_e32 v1, vcc_lo, v1, v7, vcc_lo
	v_cmp_gt_i32_e32 vcc_lo, s17, v2
	ds_store_b64 v12, v[0:1]
	s_and_b32 exec_lo, exec_lo, vcc_lo
	s_cbranch_execz .LBB18_129
; %bb.128:
	v_ashrrev_i32_e32 v3, 31, v2
	s_delay_alu instid0(VALU_DEP_1) | instskip(NEXT) | instid1(VALU_DEP_1)
	v_lshlrev_b64 v[2:3], 3, v[2:3]
	v_add_co_u32 v2, vcc_lo, s6, v2
	s_delay_alu instid0(VALU_DEP_2)
	v_add_co_ci_u32_e32 v3, vcc_lo, s7, v3, vcc_lo
	global_store_b64 v[2:3], v[0:1], off
.LBB18_129:
	s_nop 0
	s_sendmsg sendmsg(MSG_DEALLOC_VGPRS)
	s_endpgm
	.section	.rodata,"a",@progbits
	.p2align	6, 0x0
	.amdhsa_kernel _ZN9rocsparseL14nnz_kernel_rowILi64ELi16ElidEEv16rocsparse_order_T2_S2_PKT3_lPT1_
		.amdhsa_group_segment_fixed_size 32768
		.amdhsa_private_segment_fixed_size 0
		.amdhsa_kernarg_size 296
		.amdhsa_user_sgpr_count 15
		.amdhsa_user_sgpr_dispatch_ptr 0
		.amdhsa_user_sgpr_queue_ptr 0
		.amdhsa_user_sgpr_kernarg_segment_ptr 1
		.amdhsa_user_sgpr_dispatch_id 0
		.amdhsa_user_sgpr_private_segment_size 0
		.amdhsa_wavefront_size32 1
		.amdhsa_uses_dynamic_stack 0
		.amdhsa_enable_private_segment 0
		.amdhsa_system_sgpr_workgroup_id_x 1
		.amdhsa_system_sgpr_workgroup_id_y 0
		.amdhsa_system_sgpr_workgroup_id_z 0
		.amdhsa_system_sgpr_workgroup_info 0
		.amdhsa_system_vgpr_workitem_id 1
		.amdhsa_next_free_vgpr 42
		.amdhsa_next_free_sgpr 25
		.amdhsa_reserve_vcc 1
		.amdhsa_float_round_mode_32 0
		.amdhsa_float_round_mode_16_64 0
		.amdhsa_float_denorm_mode_32 3
		.amdhsa_float_denorm_mode_16_64 3
		.amdhsa_dx10_clamp 1
		.amdhsa_ieee_mode 1
		.amdhsa_fp16_overflow 0
		.amdhsa_workgroup_processor_mode 1
		.amdhsa_memory_ordered 1
		.amdhsa_forward_progress 0
		.amdhsa_shared_vgpr_count 0
		.amdhsa_exception_fp_ieee_invalid_op 0
		.amdhsa_exception_fp_denorm_src 0
		.amdhsa_exception_fp_ieee_div_zero 0
		.amdhsa_exception_fp_ieee_overflow 0
		.amdhsa_exception_fp_ieee_underflow 0
		.amdhsa_exception_fp_ieee_inexact 0
		.amdhsa_exception_int_div_zero 0
	.end_amdhsa_kernel
	.section	.text._ZN9rocsparseL14nnz_kernel_rowILi64ELi16ElidEEv16rocsparse_order_T2_S2_PKT3_lPT1_,"axG",@progbits,_ZN9rocsparseL14nnz_kernel_rowILi64ELi16ElidEEv16rocsparse_order_T2_S2_PKT3_lPT1_,comdat
.Lfunc_end18:
	.size	_ZN9rocsparseL14nnz_kernel_rowILi64ELi16ElidEEv16rocsparse_order_T2_S2_PKT3_lPT1_, .Lfunc_end18-_ZN9rocsparseL14nnz_kernel_rowILi64ELi16ElidEEv16rocsparse_order_T2_S2_PKT3_lPT1_
                                        ; -- End function
	.section	.AMDGPU.csdata,"",@progbits
; Kernel info:
; codeLenInByte = 6576
; NumSgprs: 27
; NumVgprs: 42
; ScratchSize: 0
; MemoryBound: 0
; FloatMode: 240
; IeeeMode: 1
; LDSByteSize: 32768 bytes/workgroup (compile time only)
; SGPRBlocks: 3
; VGPRBlocks: 5
; NumSGPRsForWavesPerEU: 27
; NumVGPRsForWavesPerEU: 42
; Occupancy: 16
; WaveLimiterHint : 0
; COMPUTE_PGM_RSRC2:SCRATCH_EN: 0
; COMPUTE_PGM_RSRC2:USER_SGPR: 15
; COMPUTE_PGM_RSRC2:TRAP_HANDLER: 0
; COMPUTE_PGM_RSRC2:TGID_X_EN: 1
; COMPUTE_PGM_RSRC2:TGID_Y_EN: 0
; COMPUTE_PGM_RSRC2:TGID_Z_EN: 0
; COMPUTE_PGM_RSRC2:TIDIG_COMP_CNT: 1
	.section	.text._ZN9rocsparseL14nnz_kernel_colILi256ElidEEv16rocsparse_order_T1_S2_PKT2_lPT0_,"axG",@progbits,_ZN9rocsparseL14nnz_kernel_colILi256ElidEEv16rocsparse_order_T1_S2_PKT2_lPT0_,comdat
	.globl	_ZN9rocsparseL14nnz_kernel_colILi256ElidEEv16rocsparse_order_T1_S2_PKT2_lPT0_ ; -- Begin function _ZN9rocsparseL14nnz_kernel_colILi256ElidEEv16rocsparse_order_T1_S2_PKT2_lPT0_
	.p2align	8
	.type	_ZN9rocsparseL14nnz_kernel_colILi256ElidEEv16rocsparse_order_T1_S2_PKT2_lPT0_,@function
_ZN9rocsparseL14nnz_kernel_colILi256ElidEEv16rocsparse_order_T1_S2_PKT2_lPT0_: ; @_ZN9rocsparseL14nnz_kernel_colILi256ElidEEv16rocsparse_order_T1_S2_PKT2_lPT0_
; %bb.0:
	s_clause 0x1
	s_load_b64 s[2:3], s[0:1], 0x0
	s_load_b128 s[4:7], s[0:1], 0x10
	s_mov_b32 s8, s15
	s_waitcnt lgkmcnt(0)
	s_ashr_i32 s9, s3, 31
	s_delay_alu instid0(SALU_CYCLE_1) | instskip(NEXT) | instid1(SALU_CYCLE_1)
	s_lshr_b32 s9, s9, 24
	s_add_i32 s9, s3, s9
	s_delay_alu instid0(SALU_CYCLE_1)
	s_and_b32 s10, s9, 0xffffff00
	s_cmp_eq_u32 s2, 1
	s_cbranch_scc1 .LBB19_6
; %bb.1:
	v_mov_b32_e32 v1, 0
	v_mov_b32_e32 v2, 0
	s_cmpk_lt_i32 s3, 0x100
	s_cbranch_scc1 .LBB19_7
; %bb.2:
	v_mad_u64_u32 v[1:2], null, s6, v0, 0
	s_ashr_i32 s9, s8, 31
	s_delay_alu instid0(SALU_CYCLE_1) | instskip(NEXT) | instid1(SALU_CYCLE_1)
	s_lshl_b64 s[12:13], s[8:9], 3
	s_add_u32 s2, s4, s12
	s_addc_u32 s9, s5, s13
	s_delay_alu instid0(VALU_DEP_1) | instskip(SKIP_1) | instid1(VALU_DEP_1)
	v_mad_u64_u32 v[3:4], null, s7, v0, v[2:3]
	s_lshl_b64 s[12:13], s[6:7], 11
	v_mov_b32_e32 v2, v3
	s_delay_alu instid0(VALU_DEP_1) | instskip(SKIP_2) | instid1(VALU_DEP_3)
	v_lshlrev_b64 v[3:4], 3, v[1:2]
	v_mov_b32_e32 v1, 0
	v_mov_b32_e32 v2, 0
	v_add_co_u32 v3, vcc_lo, s2, v3
	s_delay_alu instid0(VALU_DEP_4)
	v_add_co_ci_u32_e32 v4, vcc_lo, s9, v4, vcc_lo
	s_mov_b32 s2, 0
	s_branch .LBB19_4
	.p2align	6
.LBB19_3:                               ;   in Loop: Header=BB19_4 Depth=1
	s_or_b32 exec_lo, exec_lo, s9
	v_add_co_u32 v3, vcc_lo, v3, s12
	v_add_co_ci_u32_e32 v4, vcc_lo, s13, v4, vcc_lo
	s_addk_i32 s2, 0x100
	s_delay_alu instid0(SALU_CYCLE_1)
	s_cmp_ge_i32 s2, s10
	s_cbranch_scc1 .LBB19_7
.LBB19_4:                               ; =>This Inner Loop Header: Depth=1
	v_add_nc_u32_e32 v5, s2, v0
	s_mov_b32 s9, exec_lo
	s_delay_alu instid0(VALU_DEP_1)
	v_cmpx_gt_i32_e64 s3, v5
	s_cbranch_execz .LBB19_3
; %bb.5:                                ;   in Loop: Header=BB19_4 Depth=1
	global_load_b64 v[5:6], v[3:4], off
	s_waitcnt vmcnt(0)
	v_cmp_neq_f64_e32 vcc_lo, 0, v[5:6]
	v_cndmask_b32_e64 v5, 0, 1, vcc_lo
	s_delay_alu instid0(VALU_DEP_1)
	v_add_co_u32 v1, vcc_lo, v1, v5
	v_add_co_ci_u32_e32 v2, vcc_lo, 0, v2, vcc_lo
	s_branch .LBB19_3
.LBB19_6:
	s_mov_b32 s12, 0
                                        ; implicit-def: $vgpr1_vgpr2
                                        ; implicit-def: $vgpr3_vgpr4
	s_cbranch_execnz .LBB19_10
	s_branch .LBB19_16
.LBB19_7:
	v_add_nc_u32_e32 v5, s10, v0
	s_mov_b32 s2, 0
	s_mov_b32 s12, 0
                                        ; implicit-def: $vgpr3_vgpr4
	s_mov_b32 s9, exec_lo
	s_delay_alu instid0(VALU_DEP_1)
	v_cmpx_gt_i32_e64 s3, v5
	s_xor_b32 s11, exec_lo, s9
	s_cbranch_execz .LBB19_9
; %bb.8:
	v_ashrrev_i32_e32 v6, 31, v5
	v_mul_lo_u32 v7, v5, s7
	v_mad_u64_u32 v[3:4], null, v5, s6, 0
	s_ashr_i32 s9, s8, 31
	s_delay_alu instid0(VALU_DEP_3) | instskip(SKIP_4) | instid1(VALU_DEP_1)
	v_mul_lo_u32 v5, v6, s6
	s_lshl_b64 s[14:15], s[8:9], 3
	s_mov_b32 s12, exec_lo
	s_add_u32 s9, s14, s4
	s_addc_u32 s13, s15, s5
	v_add3_u32 v4, v4, v7, v5
	s_delay_alu instid0(VALU_DEP_1) | instskip(NEXT) | instid1(VALU_DEP_1)
	v_lshlrev_b64 v[3:4], 3, v[3:4]
	v_add_co_u32 v3, vcc_lo, s9, v3
	s_delay_alu instid0(VALU_DEP_2)
	v_add_co_ci_u32_e32 v4, vcc_lo, s13, v4, vcc_lo
.LBB19_9:
	s_or_b32 exec_lo, exec_lo, s11
	s_delay_alu instid0(SALU_CYCLE_1)
	s_and_b32 vcc_lo, exec_lo, s2
	s_cbranch_vccz .LBB19_16
.LBB19_10:
	v_cmp_gt_i32_e32 vcc_lo, s3, v0
	s_mul_i32 s2, s8, s7
	s_mul_hi_u32 s7, s8, s6
	s_ashr_i32 s9, s8, 31
	s_add_i32 s2, s7, s2
	v_cndmask_b32_e32 v1, 0, v0, vcc_lo
	s_mul_i32 s9, s9, s6
	s_mul_i32 s6, s8, s6
	s_add_i32 s7, s2, s9
	s_delay_alu instid0(SALU_CYCLE_1)
	s_lshl_b64 s[6:7], s[6:7], 3
	v_lshlrev_b32_e32 v3, 3, v1
	s_add_u32 s2, s4, s6
	v_mov_b32_e32 v1, 0
	v_mov_b32_e32 v2, 0
	s_addc_u32 s4, s5, s7
	v_add_co_u32 v5, s2, s2, v3
	s_delay_alu instid0(VALU_DEP_1)
	v_add_co_ci_u32_e64 v6, null, s4, 0, s2
	s_cmpk_lt_i32 s3, 0x100
	s_mov_b32 s4, 0
	s_cbranch_scc1 .LBB19_13
; %bb.11:
	v_mov_b32_e32 v1, 0
	v_dual_mov_b32 v2, 0 :: v_dual_mov_b32 v3, v5
	v_mov_b32_e32 v4, v6
.LBB19_12:                              ; =>This Inner Loop Header: Depth=1
	global_load_b64 v[7:8], v[3:4], off
	v_add_co_u32 v3, vcc_lo, 0x800, v3
	v_add_co_ci_u32_e32 v4, vcc_lo, 0, v4, vcc_lo
	s_addk_i32 s4, 0x100
	s_delay_alu instid0(SALU_CYCLE_1) | instskip(SKIP_2) | instid1(VALU_DEP_1)
	s_cmp_ge_i32 s4, s10
	s_waitcnt vmcnt(0)
	v_cmp_neq_f64_e64 s2, 0, v[7:8]
	v_cndmask_b32_e64 v7, 0, 1, s2
	s_delay_alu instid0(VALU_DEP_1)
	v_add_co_u32 v1, vcc_lo, v1, v7
	v_add_co_ci_u32_e32 v2, vcc_lo, 0, v2, vcc_lo
	s_cbranch_scc0 .LBB19_12
.LBB19_13:
	v_add_nc_u32_e32 v3, s10, v0
	s_delay_alu instid0(VALU_DEP_1)
	v_cmp_gt_i32_e32 vcc_lo, s3, v3
                                        ; implicit-def: $vgpr3_vgpr4
	s_and_saveexec_b32 s2, vcc_lo
; %bb.14:
	s_ashr_i32 s11, s10, 31
	s_or_b32 s12, s12, exec_lo
	s_lshl_b64 s[4:5], s[10:11], 3
	s_delay_alu instid0(SALU_CYCLE_1)
	v_add_co_u32 v3, vcc_lo, v5, s4
	v_add_co_ci_u32_e32 v4, vcc_lo, s5, v6, vcc_lo
; %bb.15:
	s_or_b32 exec_lo, exec_lo, s2
.LBB19_16:
	s_and_saveexec_b32 s2, s12
	s_cbranch_execz .LBB19_18
; %bb.17:
	global_load_b64 v[3:4], v[3:4], off
	s_waitcnt vmcnt(0)
	v_cmp_neq_f64_e32 vcc_lo, 0, v[3:4]
	v_cndmask_b32_e64 v3, 0, 1, vcc_lo
	s_delay_alu instid0(VALU_DEP_1)
	v_add_co_u32 v1, vcc_lo, v1, v3
	v_add_co_ci_u32_e32 v2, vcc_lo, 0, v2, vcc_lo
.LBB19_18:
	s_or_b32 exec_lo, exec_lo, s2
	v_lshlrev_b32_e32 v3, 3, v0
	v_cmp_eq_u32_e32 vcc_lo, 0, v0
	s_cmpk_lt_i32 s3, 0x100
	s_mov_b32 s2, -1
	ds_store_b64 v3, v[1:2]
	s_waitcnt lgkmcnt(0)
	s_cbranch_scc0 .LBB19_29
; %bb.19:
	s_cmp_gt_i32 s3, 1
	s_mov_b32 s4, 1
	s_cselect_b32 s2, -1, 0
	s_barrier
	s_and_b32 s5, vcc_lo, s2
	buffer_gl0_inv
	s_and_saveexec_b32 s2, s5
	s_cbranch_execz .LBB19_28
; %bb.20:
	v_mov_b32_e32 v1, 0
	s_add_i32 s5, s3, -2
	s_add_i32 s3, s3, -1
	s_cmp_lt_u32 s5, 7
	ds_load_b64 v[1:2], v1
	s_cbranch_scc1 .LBB19_24
; %bb.21:
	s_and_b32 s4, s3, -8
	s_mov_b32 s6, 0
	s_mov_b32 s5, 8
	s_set_inst_prefetch_distance 0x1
	.p2align	6
.LBB19_22:                              ; =>This Inner Loop Header: Depth=1
	v_mov_b32_e32 v16, s5
	s_mov_b32 s7, s6
	s_add_i32 s6, s6, 8
	s_add_i32 s5, s5, 64
	s_cmp_lg_u32 s4, s6
	ds_load_2addr_b64 v[4:7], v16 offset1:1
	ds_load_2addr_b64 v[8:11], v16 offset0:2 offset1:3
	ds_load_2addr_b64 v[12:15], v16 offset0:4 offset1:5
	s_waitcnt lgkmcnt(2)
	v_add_co_u32 v1, vcc_lo, v1, v4
	v_add_co_ci_u32_e32 v2, vcc_lo, v2, v5, vcc_lo
	s_delay_alu instid0(VALU_DEP_2) | instskip(NEXT) | instid1(VALU_DEP_2)
	v_add_co_u32 v1, vcc_lo, v1, v6
	v_add_co_ci_u32_e32 v2, vcc_lo, v2, v7, vcc_lo
	ds_load_2addr_b64 v[4:7], v16 offset0:6 offset1:7
	s_waitcnt lgkmcnt(2)
	v_add_co_u32 v1, vcc_lo, v1, v8
	v_add_co_ci_u32_e32 v2, vcc_lo, v2, v9, vcc_lo
	s_delay_alu instid0(VALU_DEP_2) | instskip(NEXT) | instid1(VALU_DEP_2)
	v_add_co_u32 v1, vcc_lo, v1, v10
	v_add_co_ci_u32_e32 v2, vcc_lo, v2, v11, vcc_lo
	s_waitcnt lgkmcnt(1)
	s_delay_alu instid0(VALU_DEP_2) | instskip(NEXT) | instid1(VALU_DEP_2)
	v_add_co_u32 v1, vcc_lo, v1, v12
	v_add_co_ci_u32_e32 v2, vcc_lo, v2, v13, vcc_lo
	s_delay_alu instid0(VALU_DEP_2) | instskip(NEXT) | instid1(VALU_DEP_2)
	v_add_co_u32 v1, vcc_lo, v1, v14
	v_add_co_ci_u32_e32 v2, vcc_lo, v2, v15, vcc_lo
	s_waitcnt lgkmcnt(0)
	s_delay_alu instid0(VALU_DEP_2) | instskip(NEXT) | instid1(VALU_DEP_2)
	v_add_co_u32 v1, vcc_lo, v1, v4
	v_add_co_ci_u32_e32 v2, vcc_lo, v2, v5, vcc_lo
	s_delay_alu instid0(VALU_DEP_2) | instskip(NEXT) | instid1(VALU_DEP_2)
	v_add_co_u32 v1, vcc_lo, v1, v6
	v_add_co_ci_u32_e32 v2, vcc_lo, v2, v7, vcc_lo
	s_cbranch_scc1 .LBB19_22
; %bb.23:
	s_set_inst_prefetch_distance 0x2
	s_add_i32 s4, s7, 9
.LBB19_24:
	s_and_b32 s3, s3, 7
	s_delay_alu instid0(SALU_CYCLE_1)
	s_cmp_eq_u32 s3, 0
	s_cbranch_scc1 .LBB19_27
; %bb.25:
	s_lshl_b32 s4, s4, 3
.LBB19_26:                              ; =>This Inner Loop Header: Depth=1
	s_delay_alu instid0(SALU_CYCLE_1)
	v_mov_b32_e32 v4, s4
	s_add_i32 s3, s3, -1
	s_add_i32 s4, s4, 8
	s_cmp_lg_u32 s3, 0
	ds_load_b64 v[4:5], v4
	s_waitcnt lgkmcnt(0)
	v_add_co_u32 v1, vcc_lo, v1, v4
	v_add_co_ci_u32_e32 v2, vcc_lo, v2, v5, vcc_lo
	s_cbranch_scc1 .LBB19_26
.LBB19_27:
	v_mov_b32_e32 v4, 0
	s_waitcnt lgkmcnt(0)
	ds_store_b64 v4, v[1:2]
.LBB19_28:
	s_or_b32 exec_lo, exec_lo, s2
	s_mov_b32 s2, 0
	s_waitcnt lgkmcnt(0)
	s_barrier
.LBB19_29:
	s_and_b32 vcc_lo, exec_lo, s2
	s_cbranch_vccz .LBB19_47
; %bb.30:
	s_mov_b32 s2, exec_lo
	s_barrier
	buffer_gl0_inv
	v_cmpx_gt_u32_e32 0x80, v0
	s_cbranch_execz .LBB19_32
; %bb.31:
	ds_load_2addr_stride64_b64 v[4:7], v3 offset1:2
	s_waitcnt lgkmcnt(0)
	v_add_co_u32 v1, vcc_lo, v4, v6
	v_add_co_ci_u32_e32 v2, vcc_lo, v5, v7, vcc_lo
	ds_store_b64 v3, v[1:2]
.LBB19_32:
	s_or_b32 exec_lo, exec_lo, s2
	s_delay_alu instid0(SALU_CYCLE_1)
	s_mov_b32 s2, exec_lo
	s_waitcnt lgkmcnt(0)
	s_barrier
	buffer_gl0_inv
	v_cmpx_gt_u32_e32 64, v0
	s_cbranch_execz .LBB19_34
; %bb.33:
	ds_load_2addr_stride64_b64 v[4:7], v3 offset1:1
	s_waitcnt lgkmcnt(0)
	v_add_co_u32 v1, vcc_lo, v4, v6
	v_add_co_ci_u32_e32 v2, vcc_lo, v5, v7, vcc_lo
	ds_store_b64 v3, v[1:2]
.LBB19_34:
	s_or_b32 exec_lo, exec_lo, s2
	s_delay_alu instid0(SALU_CYCLE_1)
	s_mov_b32 s2, exec_lo
	s_waitcnt lgkmcnt(0)
	s_barrier
	buffer_gl0_inv
	v_cmpx_gt_u32_e32 32, v0
	s_cbranch_execz .LBB19_36
; %bb.35:
	ds_load_2addr_b64 v[4:7], v3 offset1:32
	s_waitcnt lgkmcnt(0)
	v_add_co_u32 v1, vcc_lo, v4, v6
	v_add_co_ci_u32_e32 v2, vcc_lo, v5, v7, vcc_lo
	ds_store_b64 v3, v[1:2]
.LBB19_36:
	s_or_b32 exec_lo, exec_lo, s2
	s_delay_alu instid0(SALU_CYCLE_1)
	s_mov_b32 s2, exec_lo
	s_waitcnt lgkmcnt(0)
	s_barrier
	buffer_gl0_inv
	v_cmpx_gt_u32_e32 16, v0
	s_cbranch_execz .LBB19_38
; %bb.37:
	ds_load_2addr_b64 v[4:7], v3 offset1:16
	s_waitcnt lgkmcnt(0)
	v_add_co_u32 v1, vcc_lo, v4, v6
	v_add_co_ci_u32_e32 v2, vcc_lo, v5, v7, vcc_lo
	ds_store_b64 v3, v[1:2]
.LBB19_38:
	;; [unrolled: 15-line block ×5, first 2 shown]
	s_or_b32 exec_lo, exec_lo, s2
	s_delay_alu instid0(SALU_CYCLE_1)
	s_mov_b32 s2, exec_lo
	s_waitcnt lgkmcnt(0)
	s_barrier
	buffer_gl0_inv
	v_cmpx_eq_u32_e32 0, v0
	s_cbranch_execz .LBB19_46
; %bb.45:
	v_mov_b32_e32 v5, 0
	ds_load_b128 v[1:4], v5
	s_waitcnt lgkmcnt(0)
	v_add_co_u32 v1, vcc_lo, v1, v3
	v_add_co_ci_u32_e32 v2, vcc_lo, v2, v4, vcc_lo
	ds_store_b64 v5, v[1:2]
.LBB19_46:
	s_or_b32 exec_lo, exec_lo, s2
	s_waitcnt lgkmcnt(0)
	s_barrier
.LBB19_47:
	buffer_gl0_inv
	s_mov_b32 s2, exec_lo
	v_cmpx_eq_u32_e32 0, v0
	s_cbranch_execz .LBB19_49
; %bb.48:
	v_mov_b32_e32 v2, 0
	s_load_b64 s[0:1], s[0:1], 0x20
	s_ashr_i32 s9, s8, 31
	s_delay_alu instid0(SALU_CYCLE_1)
	s_lshl_b64 s[2:3], s[8:9], 3
	ds_load_b64 v[0:1], v2
	s_waitcnt lgkmcnt(0)
	s_add_u32 s0, s0, s2
	s_addc_u32 s1, s1, s3
	global_store_b64 v2, v[0:1], s[0:1]
.LBB19_49:
	s_nop 0
	s_sendmsg sendmsg(MSG_DEALLOC_VGPRS)
	s_endpgm
	.section	.rodata,"a",@progbits
	.p2align	6, 0x0
	.amdhsa_kernel _ZN9rocsparseL14nnz_kernel_colILi256ElidEEv16rocsparse_order_T1_S2_PKT2_lPT0_
		.amdhsa_group_segment_fixed_size 2048
		.amdhsa_private_segment_fixed_size 0
		.amdhsa_kernarg_size 40
		.amdhsa_user_sgpr_count 15
		.amdhsa_user_sgpr_dispatch_ptr 0
		.amdhsa_user_sgpr_queue_ptr 0
		.amdhsa_user_sgpr_kernarg_segment_ptr 1
		.amdhsa_user_sgpr_dispatch_id 0
		.amdhsa_user_sgpr_private_segment_size 0
		.amdhsa_wavefront_size32 1
		.amdhsa_uses_dynamic_stack 0
		.amdhsa_enable_private_segment 0
		.amdhsa_system_sgpr_workgroup_id_x 1
		.amdhsa_system_sgpr_workgroup_id_y 0
		.amdhsa_system_sgpr_workgroup_id_z 0
		.amdhsa_system_sgpr_workgroup_info 0
		.amdhsa_system_vgpr_workitem_id 0
		.amdhsa_next_free_vgpr 17
		.amdhsa_next_free_sgpr 16
		.amdhsa_reserve_vcc 1
		.amdhsa_float_round_mode_32 0
		.amdhsa_float_round_mode_16_64 0
		.amdhsa_float_denorm_mode_32 3
		.amdhsa_float_denorm_mode_16_64 3
		.amdhsa_dx10_clamp 1
		.amdhsa_ieee_mode 1
		.amdhsa_fp16_overflow 0
		.amdhsa_workgroup_processor_mode 1
		.amdhsa_memory_ordered 1
		.amdhsa_forward_progress 0
		.amdhsa_shared_vgpr_count 0
		.amdhsa_exception_fp_ieee_invalid_op 0
		.amdhsa_exception_fp_denorm_src 0
		.amdhsa_exception_fp_ieee_div_zero 0
		.amdhsa_exception_fp_ieee_overflow 0
		.amdhsa_exception_fp_ieee_underflow 0
		.amdhsa_exception_fp_ieee_inexact 0
		.amdhsa_exception_int_div_zero 0
	.end_amdhsa_kernel
	.section	.text._ZN9rocsparseL14nnz_kernel_colILi256ElidEEv16rocsparse_order_T1_S2_PKT2_lPT0_,"axG",@progbits,_ZN9rocsparseL14nnz_kernel_colILi256ElidEEv16rocsparse_order_T1_S2_PKT2_lPT0_,comdat
.Lfunc_end19:
	.size	_ZN9rocsparseL14nnz_kernel_colILi256ElidEEv16rocsparse_order_T1_S2_PKT2_lPT0_, .Lfunc_end19-_ZN9rocsparseL14nnz_kernel_colILi256ElidEEv16rocsparse_order_T1_S2_PKT2_lPT0_
                                        ; -- End function
	.section	.AMDGPU.csdata,"",@progbits
; Kernel info:
; codeLenInByte = 1768
; NumSgprs: 18
; NumVgprs: 17
; ScratchSize: 0
; MemoryBound: 0
; FloatMode: 240
; IeeeMode: 1
; LDSByteSize: 2048 bytes/workgroup (compile time only)
; SGPRBlocks: 2
; VGPRBlocks: 2
; NumSGPRsForWavesPerEU: 18
; NumVGPRsForWavesPerEU: 17
; Occupancy: 16
; WaveLimiterHint : 0
; COMPUTE_PGM_RSRC2:SCRATCH_EN: 0
; COMPUTE_PGM_RSRC2:USER_SGPR: 15
; COMPUTE_PGM_RSRC2:TRAP_HANDLER: 0
; COMPUTE_PGM_RSRC2:TGID_X_EN: 1
; COMPUTE_PGM_RSRC2:TGID_Y_EN: 0
; COMPUTE_PGM_RSRC2:TGID_Z_EN: 0
; COMPUTE_PGM_RSRC2:TIDIG_COMP_CNT: 0
	.section	.text._ZN9rocsparseL14nnz_kernel_rowILi64ELi16Eli21rocsparse_complex_numIfEEEv16rocsparse_order_T2_S4_PKT3_lPT1_,"axG",@progbits,_ZN9rocsparseL14nnz_kernel_rowILi64ELi16Eli21rocsparse_complex_numIfEEEv16rocsparse_order_T2_S4_PKT3_lPT1_,comdat
	.globl	_ZN9rocsparseL14nnz_kernel_rowILi64ELi16Eli21rocsparse_complex_numIfEEEv16rocsparse_order_T2_S4_PKT3_lPT1_ ; -- Begin function _ZN9rocsparseL14nnz_kernel_rowILi64ELi16Eli21rocsparse_complex_numIfEEEv16rocsparse_order_T2_S4_PKT3_lPT1_
	.p2align	8
	.type	_ZN9rocsparseL14nnz_kernel_rowILi64ELi16Eli21rocsparse_complex_numIfEEEv16rocsparse_order_T2_S4_PKT3_lPT1_,@function
_ZN9rocsparseL14nnz_kernel_rowILi64ELi16Eli21rocsparse_complex_numIfEEEv16rocsparse_order_T2_S4_PKT3_lPT1_: ; @_ZN9rocsparseL14nnz_kernel_rowILi64ELi16Eli21rocsparse_complex_numIfEEEv16rocsparse_order_T2_S4_PKT3_lPT1_
; %bb.0:
	s_clause 0x2
	s_load_b32 s2, s[0:1], 0x34
	s_load_b256 s[16:23], s[0:1], 0x0
	s_load_b64 s[6:7], s[0:1], 0x20
	s_mov_b32 s8, 0
	s_waitcnt lgkmcnt(0)
	s_lshl_b32 s19, s15, 8
	s_mov_b32 s9, s8
	s_mov_b32 s10, s8
	;; [unrolled: 1-line block ×7, first 2 shown]
	v_and_b32_e32 v1, 0x3ff, v0
	v_bfe_u32 v0, v0, 10, 10
	s_mov_b32 s25, exec_lo
	s_and_b32 s0, s2, 0xffff
	s_delay_alu instid0(VALU_DEP_1) | instid1(SALU_CYCLE_1)
	v_mad_u32_u24 v20, v0, s0, v1
	s_ashr_i32 s0, s18, 31
	s_delay_alu instid0(SALU_CYCLE_1) | instskip(NEXT) | instid1(SALU_CYCLE_1)
	s_lshr_b32 s0, s0, 26
	s_add_i32 s24, s18, s0
	s_delay_alu instid0(VALU_DEP_1) | instskip(SKIP_2) | instid1(VALU_DEP_2)
	v_lshrrev_b32_e32 v0, 4, v20
	v_and_b32_e32 v21, 63, v20
	s_and_not1_b32 s24, s24, 63
	v_and_b32_e32 v16, 0x7ffffc, v0
	v_dual_mov_b32 v0, s8 :: v_dual_mov_b32 v1, s9
	s_delay_alu instid0(VALU_DEP_3) | instskip(SKIP_3) | instid1(VALU_DEP_4)
	v_or_b32_e32 v18, s19, v21
	v_dual_mov_b32 v2, s10 :: v_dual_mov_b32 v3, s11
	v_dual_mov_b32 v4, s12 :: v_dual_mov_b32 v5, s13
	;; [unrolled: 1-line block ×3, first 2 shown]
	v_or_b32_e32 v24, 64, v18
	v_or_b32_e32 v23, 0x80, v18
	;; [unrolled: 1-line block ×3, first 2 shown]
	v_cmpx_gt_i32_e64 s24, v16
	s_cbranch_execz .LBB20_28
; %bb.1:
	v_lshrrev_b32_e32 v15, 6, v20
	v_cmp_gt_i32_e64 s0, s17, v18
	v_cmp_gt_i32_e64 s1, s17, v24
	;; [unrolled: 1-line block ×4, first 2 shown]
	v_lshlrev_b32_e32 v27, 2, v15
	v_lshlrev_b32_e32 v35, 5, v15
	s_cmp_lg_u32 s16, 1
	s_delay_alu instid0(VALU_DEP_2) | instskip(SKIP_1) | instid1(VALU_DEP_2)
	v_or_b32_e32 v12, 3, v27
	v_or_b32_e32 v19, 2, v27
	v_mad_u64_u32 v[4:5], null, s22, v12, 0
	v_add_nc_u32_e32 v0, s19, v21
	s_delay_alu instid0(VALU_DEP_3) | instskip(NEXT) | instid1(VALU_DEP_2)
	v_mad_u64_u32 v[8:9], null, s22, v19, 0
	v_ashrrev_i32_e32 v1, 31, v0
	s_delay_alu instid0(VALU_DEP_1)
	v_mul_lo_u32 v17, s22, v1
	v_lshlrev_b64 v[6:7], 3, v[0:1]
	v_mov_b32_e32 v1, v5
	v_mad_u64_u32 v[2:3], null, s22, v0, 0
	v_mul_lo_u32 v13, s23, v0
	v_add_nc_u32_e32 v14, 64, v0
	s_delay_alu instid0(VALU_DEP_3) | instskip(SKIP_1) | instid1(VALU_DEP_4)
	v_mad_u64_u32 v[10:11], null, s23, v12, v[1:2]
	v_mov_b32_e32 v1, v9
	v_add3_u32 v3, v3, v17, v13
	s_delay_alu instid0(VALU_DEP_4)
	v_ashrrev_i32_e32 v25, 31, v14
	v_add_nc_u32_e32 v28, 0x80, v0
	v_mul_lo_u32 v26, s23, v14
	v_mad_u64_u32 v[11:12], null, s22, v14, 0
	v_mov_b32_e32 v5, v10
	v_lshlrev_b64 v[2:3], 3, v[2:3]
	v_mul_lo_u32 v25, s22, v25
	v_mad_u64_u32 v[13:14], null, s22, v27, s[22:23]
	s_delay_alu instid0(VALU_DEP_4)
	v_lshlrev_b64 v[4:5], 3, v[4:5]
	v_ashrrev_i32_e32 v29, 31, v28
	v_add_co_u32 v17, vcc_lo, v2, v35
	v_mad_u64_u32 v[9:10], null, s23, v19, v[1:2]
	v_add_co_ci_u32_e32 v19, vcc_lo, 0, v3, vcc_lo
	v_add3_u32 v12, v12, v25, v26
	v_add_co_u32 v25, vcc_lo, v4, v6
	v_add_co_ci_u32_e32 v26, vcc_lo, v5, v7, vcc_lo
	v_mad_u64_u32 v[4:5], null, s22, v28, 0
	v_mov_b32_e32 v3, v14
	v_lshlrev_b64 v[1:2], 3, v[11:12]
	v_mul_lo_u32 v12, s22, v29
	v_mul_lo_u32 v14, s23, v28
	s_delay_alu instid0(VALU_DEP_4) | instskip(SKIP_4) | instid1(VALU_DEP_4)
	v_mad_u64_u32 v[10:11], null, s23, v27, v[3:4]
	v_add_nc_u32_e32 v11, 0xc0, v0
	v_add_co_u32 v27, vcc_lo, v1, v35
	v_add_co_ci_u32_e32 v28, vcc_lo, 0, v2, vcc_lo
	v_lshlrev_b64 v[2:3], 3, v[8:9]
	v_ashrrev_i32_e32 v29, 31, v11
	v_add3_u32 v5, v5, v12, v14
	v_mad_u64_u32 v[0:1], null, s22, v15, 0
	v_mul_lo_u32 v31, s23, v11
	s_delay_alu instid0(VALU_DEP_4)
	v_mul_lo_u32 v12, s22, v29
	v_add_co_u32 v29, vcc_lo, v2, v6
	v_add_co_ci_u32_e32 v30, vcc_lo, v3, v7, vcc_lo
	v_lshlrev_b64 v[2:3], 3, v[4:5]
	v_mad_u64_u32 v[8:9], null, s22, v11, 0
	v_mov_b32_e32 v14, v10
	s_delay_alu instid0(VALU_DEP_3) | instskip(NEXT) | instid1(VALU_DEP_2)
	v_mad_u64_u32 v[4:5], null, s23, v15, v[1:2]
	v_lshlrev_b64 v[10:11], 3, v[13:14]
	s_delay_alu instid0(VALU_DEP_4) | instskip(SKIP_3) | instid1(VALU_DEP_4)
	v_add3_u32 v9, v9, v12, v31
	v_add_co_u32 v31, vcc_lo, v2, v35
	v_add_co_ci_u32_e32 v32, vcc_lo, 0, v3, vcc_lo
	v_mov_b32_e32 v1, v4
	v_lshlrev_b64 v[2:3], 3, v[8:9]
	v_add_co_u32 v33, vcc_lo, v10, v6
	v_add_co_ci_u32_e32 v34, vcc_lo, v11, v7, vcc_lo
	s_delay_alu instid0(VALU_DEP_4) | instskip(NEXT) | instid1(VALU_DEP_4)
	v_lshlrev_b64 v[0:1], 5, v[0:1]
	v_add_co_u32 v35, vcc_lo, v2, v35
	v_add_co_ci_u32_e32 v36, vcc_lo, 0, v3, vcc_lo
	s_delay_alu instid0(VALU_DEP_3) | instskip(NEXT) | instid1(VALU_DEP_4)
	v_add_co_u32 v37, vcc_lo, v0, v6
	v_add_co_ci_u32_e32 v38, vcc_lo, v1, v7, vcc_lo
	v_mov_b32_e32 v0, s8
	v_dual_mov_b32 v6, s14 :: v_dual_mov_b32 v1, s9
	v_dual_mov_b32 v2, s10 :: v_dual_mov_b32 v3, s11
	v_dual_mov_b32 v4, s12 :: v_dual_mov_b32 v5, s13
	v_mov_b32_e32 v7, s15
	s_cselect_b32 s9, -1, 0
	s_lshl_b64 s[10:11], s[22:23], 9
	s_branch .LBB20_4
.LBB20_2:                               ;   in Loop: Header=BB20_4 Depth=1
	s_delay_alu instid0(VALU_DEP_1) | instskip(NEXT) | instid1(VALU_DEP_3)
	v_dual_mov_b32 v0, v8 :: v_dual_mov_b32 v1, v9
	v_dual_mov_b32 v2, v10 :: v_dual_mov_b32 v3, v11
	;; [unrolled: 1-line block ×4, first 2 shown]
.LBB20_3:                               ;   in Loop: Header=BB20_4 Depth=1
	s_or_b32 exec_lo, exec_lo, s12
	v_add_co_u32 v17, vcc_lo, 0x200, v17
	v_add_co_ci_u32_e32 v19, vcc_lo, 0, v19, vcc_lo
	v_add_co_u32 v25, vcc_lo, v25, s10
	v_add_co_ci_u32_e32 v26, vcc_lo, s11, v26, vcc_lo
	;; [unrolled: 2-line block ×5, first 2 shown]
	v_add_co_u32 v33, vcc_lo, v33, s10
	v_add_nc_u32_e32 v16, 64, v16
	v_add_co_ci_u32_e32 v34, vcc_lo, s11, v34, vcc_lo
	v_add_co_u32 v35, vcc_lo, 0x200, v35
	v_add_co_ci_u32_e32 v36, vcc_lo, 0, v36, vcc_lo
	s_delay_alu instid0(VALU_DEP_4) | instskip(SKIP_1) | instid1(VALU_DEP_1)
	v_cmp_le_i32_e32 vcc_lo, s24, v16
	v_add_co_u32 v37, s4, v37, s10
	v_add_co_ci_u32_e64 v38, s4, s11, v38, s4
	s_or_b32 s8, vcc_lo, s8
	s_delay_alu instid0(SALU_CYCLE_1)
	s_and_not1_b32 exec_lo, exec_lo, s8
	s_cbranch_execz .LBB20_27
.LBB20_4:                               ; =>This Inner Loop Header: Depth=1
	s_and_saveexec_b32 s12, s0
	s_cbranch_execnz .LBB20_8
; %bb.5:                                ;   in Loop: Header=BB20_4 Depth=1
	s_or_b32 exec_lo, exec_lo, s12
	s_and_saveexec_b32 s12, s1
	s_cbranch_execnz .LBB20_13
.LBB20_6:                               ;   in Loop: Header=BB20_4 Depth=1
	s_or_b32 exec_lo, exec_lo, s12
	s_and_saveexec_b32 s12, s2
	s_cbranch_execnz .LBB20_18
.LBB20_7:                               ;   in Loop: Header=BB20_4 Depth=1
	s_or_b32 exec_lo, exec_lo, s12
	s_and_saveexec_b32 s12, s3
	s_cbranch_execz .LBB20_3
	s_branch .LBB20_23
.LBB20_8:                               ;   in Loop: Header=BB20_4 Depth=1
	s_and_not1_b32 vcc_lo, exec_lo, s9
	s_cbranch_vccnz .LBB20_10
; %bb.9:                                ;   in Loop: Header=BB20_4 Depth=1
	v_add_co_u32 v12, vcc_lo, s20, v17
	v_add_co_ci_u32_e32 v13, vcc_lo, s21, v19, vcc_lo
	s_clause 0x1
	global_load_b128 v[8:11], v[12:13], off
	global_load_b128 v[12:15], v[12:13], off offset:16
	s_waitcnt vmcnt(1)
	v_cmp_neq_f32_e32 vcc_lo, 0, v8
	v_cmp_neq_f32_e64 s4, 0, v9
	v_add_co_u32 v8, s5, v0, 1
	s_delay_alu instid0(VALU_DEP_1) | instskip(NEXT) | instid1(VALU_DEP_3)
	v_add_co_ci_u32_e64 v9, s5, 0, v1, s5
	s_or_b32 vcc_lo, vcc_lo, s4
	v_cmp_neq_f32_e64 s4, 0, v11
	s_delay_alu instid0(VALU_DEP_2) | instskip(SKIP_1) | instid1(VALU_DEP_2)
	v_dual_cndmask_b32 v8, v0, v8 :: v_dual_cndmask_b32 v9, v1, v9
	v_cmp_neq_f32_e32 vcc_lo, 0, v10
	v_add_co_u32 v10, s5, v8, 1
	s_delay_alu instid0(VALU_DEP_1) | instskip(SKIP_3) | instid1(VALU_DEP_2)
	v_add_co_ci_u32_e64 v11, s5, 0, v9, s5
	s_or_b32 vcc_lo, vcc_lo, s4
	s_waitcnt vmcnt(0)
	v_cmp_neq_f32_e64 s4, 0, v13
	v_dual_cndmask_b32 v8, v8, v10 :: v_dual_cndmask_b32 v9, v9, v11
	v_cmp_neq_f32_e32 vcc_lo, 0, v12
	v_mov_b32_e32 v13, v5
	s_delay_alu instid0(VALU_DEP_3) | instskip(NEXT) | instid1(VALU_DEP_1)
	v_add_co_u32 v11, s5, v8, 1
	v_add_co_ci_u32_e64 v12, s5, 0, v9, s5
	s_or_b32 vcc_lo, vcc_lo, s4
	v_mov_b32_e32 v10, v2
	s_delay_alu instid0(VALU_DEP_3) | instskip(NEXT) | instid1(VALU_DEP_3)
	v_dual_cndmask_b32 v8, v8, v11 :: v_dual_mov_b32 v11, v3
	v_cndmask_b32_e32 v9, v9, v12, vcc_lo
	v_cmp_neq_f32_e32 vcc_lo, 0, v14
	v_cmp_neq_f32_e64 s4, 0, v15
	s_delay_alu instid0(VALU_DEP_4) | instskip(NEXT) | instid1(VALU_DEP_1)
	v_add_co_u32 v15, s5, v8, 1
	v_add_co_ci_u32_e64 v39, s5, 0, v9, s5
	s_delay_alu instid0(VALU_DEP_3) | instskip(SKIP_1) | instid1(VALU_DEP_2)
	s_or_b32 vcc_lo, vcc_lo, s4
	v_mov_b32_e32 v12, v4
	v_dual_mov_b32 v14, v6 :: v_dual_cndmask_b32 v9, v9, v39
	v_dual_cndmask_b32 v8, v8, v15 :: v_dual_mov_b32 v15, v7
	s_cbranch_execz .LBB20_11
	s_branch .LBB20_12
.LBB20_10:                              ;   in Loop: Header=BB20_4 Depth=1
                                        ; implicit-def: $vgpr8_vgpr9_vgpr10_vgpr11_vgpr12_vgpr13_vgpr14_vgpr15
.LBB20_11:                              ;   in Loop: Header=BB20_4 Depth=1
	v_add_co_u32 v8, vcc_lo, s20, v37
	v_add_co_ci_u32_e32 v9, vcc_lo, s21, v38, vcc_lo
	v_add_co_u32 v10, vcc_lo, s20, v33
	v_add_co_ci_u32_e32 v11, vcc_lo, s21, v34, vcc_lo
	global_load_b64 v[8:9], v[8:9], off
	v_add_co_u32 v12, vcc_lo, s20, v29
	global_load_b64 v[10:11], v[10:11], off
	v_add_co_ci_u32_e32 v13, vcc_lo, s21, v30, vcc_lo
	v_add_co_u32 v14, vcc_lo, s20, v25
	v_add_co_ci_u32_e32 v15, vcc_lo, s21, v26, vcc_lo
	s_clause 0x1
	global_load_b64 v[12:13], v[12:13], off
	global_load_b64 v[14:15], v[14:15], off
	s_waitcnt vmcnt(3)
	v_cmp_neq_f32_e32 vcc_lo, 0, v8
	v_cmp_neq_f32_e64 s4, 0, v9
	v_add_co_u32 v8, s5, v0, 1
	s_delay_alu instid0(VALU_DEP_1) | instskip(NEXT) | instid1(VALU_DEP_3)
	v_add_co_ci_u32_e64 v9, s5, 0, v1, s5
	s_or_b32 vcc_lo, vcc_lo, s4
	s_waitcnt vmcnt(2)
	v_cmp_neq_f32_e64 s4, 0, v11
	s_delay_alu instid0(VALU_DEP_2) | instskip(SKIP_1) | instid1(VALU_DEP_2)
	v_dual_cndmask_b32 v0, v0, v8 :: v_dual_cndmask_b32 v1, v1, v9
	v_cmp_neq_f32_e32 vcc_lo, 0, v10
	v_add_co_u32 v8, s5, v0, 1
	s_delay_alu instid0(VALU_DEP_1) | instskip(SKIP_3) | instid1(VALU_DEP_2)
	v_add_co_ci_u32_e64 v9, s5, 0, v1, s5
	s_or_b32 vcc_lo, vcc_lo, s4
	s_waitcnt vmcnt(1)
	v_cmp_neq_f32_e64 s4, 0, v13
	v_dual_cndmask_b32 v0, v0, v8 :: v_dual_cndmask_b32 v1, v1, v9
	v_cmp_neq_f32_e32 vcc_lo, 0, v12
	s_delay_alu instid0(VALU_DEP_2) | instskip(NEXT) | instid1(VALU_DEP_1)
	v_add_co_u32 v8, s5, v0, 1
	v_add_co_ci_u32_e64 v9, s5, 0, v1, s5
	s_or_b32 vcc_lo, vcc_lo, s4
	s_waitcnt vmcnt(0)
	v_cmp_neq_f32_e64 s4, 0, v15
	s_delay_alu instid0(VALU_DEP_2) | instskip(SKIP_1) | instid1(VALU_DEP_2)
	v_dual_cndmask_b32 v0, v0, v8 :: v_dual_cndmask_b32 v1, v1, v9
	v_cmp_neq_f32_e32 vcc_lo, 0, v14
	v_add_co_u32 v8, s5, v0, 1
	s_delay_alu instid0(VALU_DEP_1) | instskip(SKIP_1) | instid1(VALU_DEP_1)
	v_add_co_ci_u32_e64 v9, s5, 0, v1, s5
	s_or_b32 vcc_lo, vcc_lo, s4
	v_dual_cndmask_b32 v0, v0, v8 :: v_dual_cndmask_b32 v1, v1, v9
	v_dual_mov_b32 v15, v7 :: v_dual_mov_b32 v14, v6
	v_dual_mov_b32 v13, v5 :: v_dual_mov_b32 v12, v4
	;; [unrolled: 1-line block ×3, first 2 shown]
	s_delay_alu instid0(VALU_DEP_4)
	v_dual_mov_b32 v9, v1 :: v_dual_mov_b32 v8, v0
.LBB20_12:                              ;   in Loop: Header=BB20_4 Depth=1
	s_delay_alu instid0(VALU_DEP_1) | instskip(NEXT) | instid1(VALU_DEP_3)
	v_dual_mov_b32 v0, v8 :: v_dual_mov_b32 v1, v9
	v_dual_mov_b32 v2, v10 :: v_dual_mov_b32 v3, v11
	v_dual_mov_b32 v4, v12 :: v_dual_mov_b32 v5, v13
	v_dual_mov_b32 v6, v14 :: v_dual_mov_b32 v7, v15
	s_or_b32 exec_lo, exec_lo, s12
	s_and_saveexec_b32 s12, s1
	s_cbranch_execz .LBB20_6
.LBB20_13:                              ;   in Loop: Header=BB20_4 Depth=1
	s_and_not1_b32 vcc_lo, exec_lo, s9
	s_cbranch_vccnz .LBB20_15
; %bb.14:                               ;   in Loop: Header=BB20_4 Depth=1
	v_add_co_u32 v12, vcc_lo, s20, v27
	v_add_co_ci_u32_e32 v13, vcc_lo, s21, v28, vcc_lo
	s_clause 0x1
	global_load_b128 v[8:11], v[12:13], off
	global_load_b128 v[12:15], v[12:13], off offset:16
	s_waitcnt vmcnt(1)
	v_cmp_neq_f32_e32 vcc_lo, 0, v8
	v_cmp_neq_f32_e64 s4, 0, v9
	v_add_co_u32 v8, s5, v2, 1
	s_delay_alu instid0(VALU_DEP_1) | instskip(NEXT) | instid1(VALU_DEP_3)
	v_add_co_ci_u32_e64 v9, s5, 0, v3, s5
	s_or_b32 vcc_lo, vcc_lo, s4
	v_cmp_neq_f32_e64 s4, 0, v11
	s_delay_alu instid0(VALU_DEP_2) | instskip(SKIP_1) | instid1(VALU_DEP_2)
	v_dual_cndmask_b32 v8, v2, v8 :: v_dual_cndmask_b32 v9, v3, v9
	v_cmp_neq_f32_e32 vcc_lo, 0, v10
	v_add_co_u32 v10, s5, v8, 1
	s_delay_alu instid0(VALU_DEP_1) | instskip(SKIP_3) | instid1(VALU_DEP_2)
	v_add_co_ci_u32_e64 v11, s5, 0, v9, s5
	s_or_b32 vcc_lo, vcc_lo, s4
	s_waitcnt vmcnt(0)
	v_cmp_neq_f32_e64 s4, 0, v13
	v_dual_cndmask_b32 v10, v8, v10 :: v_dual_cndmask_b32 v9, v9, v11
	v_cmp_neq_f32_e32 vcc_lo, 0, v12
	v_mov_b32_e32 v13, v5
	s_delay_alu instid0(VALU_DEP_3) | instskip(NEXT) | instid1(VALU_DEP_1)
	v_add_co_u32 v11, s5, v10, 1
	v_add_co_ci_u32_e64 v12, s5, 0, v9, s5
	s_or_b32 vcc_lo, vcc_lo, s4
	v_mov_b32_e32 v8, v0
	s_delay_alu instid0(VALU_DEP_2) | instskip(SKIP_3) | instid1(VALU_DEP_4)
	v_dual_cndmask_b32 v10, v10, v11 :: v_dual_cndmask_b32 v39, v9, v12
	v_mov_b32_e32 v9, v1
	v_cmp_neq_f32_e32 vcc_lo, 0, v14
	v_cmp_neq_f32_e64 s4, 0, v15
	v_add_co_u32 v15, s5, v10, 1
	s_delay_alu instid0(VALU_DEP_1) | instskip(NEXT) | instid1(VALU_DEP_3)
	v_add_co_ci_u32_e64 v11, s5, 0, v39, s5
	s_or_b32 vcc_lo, vcc_lo, s4
	v_mov_b32_e32 v12, v4
	s_delay_alu instid0(VALU_DEP_2)
	v_dual_mov_b32 v14, v6 :: v_dual_cndmask_b32 v11, v39, v11
	v_dual_cndmask_b32 v10, v10, v15 :: v_dual_mov_b32 v15, v7
	s_cbranch_execz .LBB20_16
	s_branch .LBB20_17
.LBB20_15:                              ;   in Loop: Header=BB20_4 Depth=1
                                        ; implicit-def: $vgpr8_vgpr9_vgpr10_vgpr11_vgpr12_vgpr13_vgpr14_vgpr15
.LBB20_16:                              ;   in Loop: Header=BB20_4 Depth=1
	v_add_co_u32 v8, vcc_lo, s20, v37
	v_add_co_ci_u32_e32 v9, vcc_lo, s21, v38, vcc_lo
	v_add_co_u32 v10, vcc_lo, s20, v33
	v_add_co_ci_u32_e32 v11, vcc_lo, s21, v34, vcc_lo
	global_load_b64 v[8:9], v[8:9], off offset:512
	v_add_co_u32 v12, vcc_lo, s20, v29
	global_load_b64 v[10:11], v[10:11], off offset:512
	v_add_co_ci_u32_e32 v13, vcc_lo, s21, v30, vcc_lo
	v_add_co_u32 v14, vcc_lo, s20, v25
	v_add_co_ci_u32_e32 v15, vcc_lo, s21, v26, vcc_lo
	s_clause 0x1
	global_load_b64 v[12:13], v[12:13], off offset:512
	global_load_b64 v[14:15], v[14:15], off offset:512
	s_waitcnt vmcnt(3)
	v_cmp_neq_f32_e32 vcc_lo, 0, v8
	v_cmp_neq_f32_e64 s4, 0, v9
	v_add_co_u32 v8, s5, v2, 1
	s_delay_alu instid0(VALU_DEP_1) | instskip(NEXT) | instid1(VALU_DEP_3)
	v_add_co_ci_u32_e64 v9, s5, 0, v3, s5
	s_or_b32 vcc_lo, vcc_lo, s4
	s_waitcnt vmcnt(2)
	v_cmp_neq_f32_e64 s4, 0, v11
	s_delay_alu instid0(VALU_DEP_2) | instskip(SKIP_1) | instid1(VALU_DEP_2)
	v_dual_cndmask_b32 v2, v2, v8 :: v_dual_cndmask_b32 v3, v3, v9
	v_cmp_neq_f32_e32 vcc_lo, 0, v10
	v_add_co_u32 v8, s5, v2, 1
	s_delay_alu instid0(VALU_DEP_1) | instskip(SKIP_3) | instid1(VALU_DEP_2)
	v_add_co_ci_u32_e64 v9, s5, 0, v3, s5
	s_or_b32 vcc_lo, vcc_lo, s4
	s_waitcnt vmcnt(1)
	v_cmp_neq_f32_e64 s4, 0, v13
	v_dual_cndmask_b32 v2, v2, v8 :: v_dual_cndmask_b32 v3, v3, v9
	v_cmp_neq_f32_e32 vcc_lo, 0, v12
	s_delay_alu instid0(VALU_DEP_2) | instskip(NEXT) | instid1(VALU_DEP_1)
	v_add_co_u32 v8, s5, v2, 1
	v_add_co_ci_u32_e64 v9, s5, 0, v3, s5
	s_or_b32 vcc_lo, vcc_lo, s4
	s_waitcnt vmcnt(0)
	v_cmp_neq_f32_e64 s4, 0, v15
	s_delay_alu instid0(VALU_DEP_2) | instskip(SKIP_1) | instid1(VALU_DEP_2)
	v_dual_cndmask_b32 v2, v2, v8 :: v_dual_cndmask_b32 v3, v3, v9
	v_cmp_neq_f32_e32 vcc_lo, 0, v14
	v_add_co_u32 v8, s5, v2, 1
	s_delay_alu instid0(VALU_DEP_1) | instskip(SKIP_1) | instid1(VALU_DEP_1)
	v_add_co_ci_u32_e64 v9, s5, 0, v3, s5
	s_or_b32 vcc_lo, vcc_lo, s4
	v_dual_cndmask_b32 v2, v2, v8 :: v_dual_cndmask_b32 v3, v3, v9
	v_dual_mov_b32 v15, v7 :: v_dual_mov_b32 v14, v6
	v_dual_mov_b32 v13, v5 :: v_dual_mov_b32 v12, v4
	s_delay_alu instid0(VALU_DEP_3)
	v_dual_mov_b32 v11, v3 :: v_dual_mov_b32 v10, v2
	v_dual_mov_b32 v9, v1 :: v_dual_mov_b32 v8, v0
.LBB20_17:                              ;   in Loop: Header=BB20_4 Depth=1
	s_delay_alu instid0(VALU_DEP_1) | instskip(NEXT) | instid1(VALU_DEP_2)
	v_dual_mov_b32 v0, v8 :: v_dual_mov_b32 v1, v9
	v_dual_mov_b32 v2, v10 :: v_dual_mov_b32 v3, v11
	;; [unrolled: 1-line block ×4, first 2 shown]
	s_or_b32 exec_lo, exec_lo, s12
	s_and_saveexec_b32 s12, s2
	s_cbranch_execz .LBB20_7
.LBB20_18:                              ;   in Loop: Header=BB20_4 Depth=1
	s_and_not1_b32 vcc_lo, exec_lo, s9
	s_cbranch_vccnz .LBB20_20
; %bb.19:                               ;   in Loop: Header=BB20_4 Depth=1
	v_add_co_u32 v12, vcc_lo, s20, v31
	v_add_co_ci_u32_e32 v13, vcc_lo, s21, v32, vcc_lo
	s_clause 0x1
	global_load_b128 v[8:11], v[12:13], off
	global_load_b128 v[12:15], v[12:13], off offset:16
	s_waitcnt vmcnt(1)
	v_cmp_neq_f32_e32 vcc_lo, 0, v8
	v_cmp_neq_f32_e64 s4, 0, v9
	v_add_co_u32 v8, s5, v4, 1
	s_delay_alu instid0(VALU_DEP_1) | instskip(NEXT) | instid1(VALU_DEP_3)
	v_add_co_ci_u32_e64 v9, s5, 0, v5, s5
	s_or_b32 vcc_lo, vcc_lo, s4
	v_cmp_neq_f32_e64 s4, 0, v11
	s_delay_alu instid0(VALU_DEP_2) | instskip(SKIP_1) | instid1(VALU_DEP_2)
	v_dual_cndmask_b32 v8, v4, v8 :: v_dual_cndmask_b32 v9, v5, v9
	v_cmp_neq_f32_e32 vcc_lo, 0, v10
	v_add_co_u32 v10, s5, v8, 1
	s_delay_alu instid0(VALU_DEP_1) | instskip(SKIP_3) | instid1(VALU_DEP_2)
	v_add_co_ci_u32_e64 v11, s5, 0, v9, s5
	s_or_b32 vcc_lo, vcc_lo, s4
	s_waitcnt vmcnt(0)
	v_cmp_neq_f32_e64 s4, 0, v13
	v_dual_cndmask_b32 v10, v8, v10 :: v_dual_cndmask_b32 v9, v9, v11
	v_cmp_neq_f32_e32 vcc_lo, 0, v12
	s_delay_alu instid0(VALU_DEP_2) | instskip(NEXT) | instid1(VALU_DEP_1)
	v_add_co_u32 v11, s5, v10, 1
	v_add_co_ci_u32_e64 v12, s5, 0, v9, s5
	s_or_b32 vcc_lo, vcc_lo, s4
	s_delay_alu instid0(VALU_DEP_2) | instskip(NEXT) | instid1(VALU_DEP_2)
	v_dual_mov_b32 v8, v0 :: v_dual_cndmask_b32 v39, v10, v11
	v_dual_cndmask_b32 v12, v9, v12 :: v_dual_mov_b32 v11, v3
	v_cmp_neq_f32_e32 vcc_lo, 0, v14
	v_cmp_neq_f32_e64 s4, 0, v15
	s_delay_alu instid0(VALU_DEP_4) | instskip(NEXT) | instid1(VALU_DEP_1)
	v_add_co_u32 v15, s5, v39, 1
	v_add_co_ci_u32_e64 v13, s5, 0, v12, s5
	s_delay_alu instid0(VALU_DEP_3) | instskip(SKIP_1) | instid1(VALU_DEP_2)
	s_or_b32 vcc_lo, vcc_lo, s4
	v_dual_mov_b32 v9, v1 :: v_dual_mov_b32 v10, v2
	v_dual_mov_b32 v14, v6 :: v_dual_cndmask_b32 v13, v12, v13
	v_cndmask_b32_e32 v12, v39, v15, vcc_lo
	v_mov_b32_e32 v15, v7
	s_cbranch_execz .LBB20_21
	s_branch .LBB20_22
.LBB20_20:                              ;   in Loop: Header=BB20_4 Depth=1
                                        ; implicit-def: $vgpr8_vgpr9_vgpr10_vgpr11_vgpr12_vgpr13_vgpr14_vgpr15
.LBB20_21:                              ;   in Loop: Header=BB20_4 Depth=1
	v_add_co_u32 v8, vcc_lo, s20, v37
	v_add_co_ci_u32_e32 v9, vcc_lo, s21, v38, vcc_lo
	v_add_co_u32 v10, vcc_lo, s20, v33
	v_add_co_ci_u32_e32 v11, vcc_lo, s21, v34, vcc_lo
	global_load_b64 v[8:9], v[8:9], off offset:1024
	v_add_co_u32 v12, vcc_lo, s20, v29
	global_load_b64 v[10:11], v[10:11], off offset:1024
	v_add_co_ci_u32_e32 v13, vcc_lo, s21, v30, vcc_lo
	v_add_co_u32 v14, vcc_lo, s20, v25
	v_add_co_ci_u32_e32 v15, vcc_lo, s21, v26, vcc_lo
	s_clause 0x1
	global_load_b64 v[12:13], v[12:13], off offset:1024
	global_load_b64 v[14:15], v[14:15], off offset:1024
	s_waitcnt vmcnt(3)
	v_cmp_neq_f32_e32 vcc_lo, 0, v8
	v_cmp_neq_f32_e64 s4, 0, v9
	v_add_co_u32 v8, s5, v4, 1
	s_delay_alu instid0(VALU_DEP_1) | instskip(NEXT) | instid1(VALU_DEP_3)
	v_add_co_ci_u32_e64 v9, s5, 0, v5, s5
	s_or_b32 vcc_lo, vcc_lo, s4
	s_waitcnt vmcnt(2)
	v_cmp_neq_f32_e64 s4, 0, v11
	s_delay_alu instid0(VALU_DEP_2) | instskip(SKIP_1) | instid1(VALU_DEP_2)
	v_dual_cndmask_b32 v4, v4, v8 :: v_dual_cndmask_b32 v5, v5, v9
	v_cmp_neq_f32_e32 vcc_lo, 0, v10
	v_add_co_u32 v8, s5, v4, 1
	s_delay_alu instid0(VALU_DEP_1) | instskip(SKIP_3) | instid1(VALU_DEP_2)
	v_add_co_ci_u32_e64 v9, s5, 0, v5, s5
	s_or_b32 vcc_lo, vcc_lo, s4
	s_waitcnt vmcnt(1)
	v_cmp_neq_f32_e64 s4, 0, v13
	v_dual_cndmask_b32 v4, v4, v8 :: v_dual_cndmask_b32 v5, v5, v9
	v_cmp_neq_f32_e32 vcc_lo, 0, v12
	s_delay_alu instid0(VALU_DEP_2) | instskip(NEXT) | instid1(VALU_DEP_1)
	v_add_co_u32 v8, s5, v4, 1
	v_add_co_ci_u32_e64 v9, s5, 0, v5, s5
	s_or_b32 vcc_lo, vcc_lo, s4
	s_waitcnt vmcnt(0)
	v_cmp_neq_f32_e64 s4, 0, v15
	s_delay_alu instid0(VALU_DEP_2) | instskip(SKIP_1) | instid1(VALU_DEP_2)
	v_dual_cndmask_b32 v4, v4, v8 :: v_dual_cndmask_b32 v5, v5, v9
	v_cmp_neq_f32_e32 vcc_lo, 0, v14
	v_add_co_u32 v8, s5, v4, 1
	s_delay_alu instid0(VALU_DEP_1) | instskip(SKIP_1) | instid1(VALU_DEP_1)
	v_add_co_ci_u32_e64 v9, s5, 0, v5, s5
	s_or_b32 vcc_lo, vcc_lo, s4
	v_dual_cndmask_b32 v4, v4, v8 :: v_dual_cndmask_b32 v5, v5, v9
	v_dual_mov_b32 v15, v7 :: v_dual_mov_b32 v14, v6
	v_dual_mov_b32 v11, v3 :: v_dual_mov_b32 v10, v2
	s_delay_alu instid0(VALU_DEP_3)
	v_dual_mov_b32 v13, v5 :: v_dual_mov_b32 v12, v4
	v_dual_mov_b32 v9, v1 :: v_dual_mov_b32 v8, v0
.LBB20_22:                              ;   in Loop: Header=BB20_4 Depth=1
	s_delay_alu instid0(VALU_DEP_1) | instskip(NEXT) | instid1(VALU_DEP_4)
	v_dual_mov_b32 v0, v8 :: v_dual_mov_b32 v1, v9
	v_dual_mov_b32 v2, v10 :: v_dual_mov_b32 v3, v11
	s_delay_alu instid0(VALU_DEP_4)
	v_dual_mov_b32 v4, v12 :: v_dual_mov_b32 v5, v13
	v_dual_mov_b32 v6, v14 :: v_dual_mov_b32 v7, v15
	s_or_b32 exec_lo, exec_lo, s12
	s_and_saveexec_b32 s12, s3
	s_cbranch_execz .LBB20_3
.LBB20_23:                              ;   in Loop: Header=BB20_4 Depth=1
	s_and_not1_b32 vcc_lo, exec_lo, s9
	s_cbranch_vccnz .LBB20_25
; %bb.24:                               ;   in Loop: Header=BB20_4 Depth=1
	v_add_co_u32 v12, vcc_lo, s20, v35
	v_add_co_ci_u32_e32 v13, vcc_lo, s21, v36, vcc_lo
	s_clause 0x1
	global_load_b128 v[8:11], v[12:13], off
	global_load_b128 v[12:15], v[12:13], off offset:16
	s_waitcnt vmcnt(1)
	v_cmp_neq_f32_e32 vcc_lo, 0, v8
	v_cmp_neq_f32_e64 s4, 0, v9
	v_add_co_u32 v8, s5, v6, 1
	s_delay_alu instid0(VALU_DEP_1) | instskip(NEXT) | instid1(VALU_DEP_3)
	v_add_co_ci_u32_e64 v9, s5, 0, v7, s5
	s_or_b32 vcc_lo, vcc_lo, s4
	v_cmp_neq_f32_e64 s4, 0, v11
	s_delay_alu instid0(VALU_DEP_2) | instskip(SKIP_1) | instid1(VALU_DEP_2)
	v_dual_cndmask_b32 v8, v6, v8 :: v_dual_cndmask_b32 v9, v7, v9
	v_cmp_neq_f32_e32 vcc_lo, 0, v10
	v_add_co_u32 v10, s5, v8, 1
	s_delay_alu instid0(VALU_DEP_1) | instskip(SKIP_3) | instid1(VALU_DEP_2)
	v_add_co_ci_u32_e64 v11, s5, 0, v9, s5
	s_or_b32 vcc_lo, vcc_lo, s4
	s_waitcnt vmcnt(0)
	v_cmp_neq_f32_e64 s4, 0, v13
	v_dual_cndmask_b32 v10, v8, v10 :: v_dual_cndmask_b32 v9, v9, v11
	v_cmp_neq_f32_e32 vcc_lo, 0, v12
	s_delay_alu instid0(VALU_DEP_2) | instskip(NEXT) | instid1(VALU_DEP_1)
	v_add_co_u32 v11, s5, v10, 1
	v_add_co_ci_u32_e64 v12, s5, 0, v9, s5
	s_or_b32 vcc_lo, vcc_lo, s4
	s_delay_alu instid0(VALU_DEP_2) | instskip(NEXT) | instid1(VALU_DEP_2)
	v_dual_mov_b32 v8, v0 :: v_dual_cndmask_b32 v39, v10, v11
	v_dual_cndmask_b32 v13, v9, v12 :: v_dual_mov_b32 v12, v4
	v_cmp_neq_f32_e32 vcc_lo, 0, v14
	v_cmp_neq_f32_e64 s4, 0, v15
	s_delay_alu instid0(VALU_DEP_4) | instskip(NEXT) | instid1(VALU_DEP_1)
	v_add_co_u32 v14, s5, v39, 1
	v_add_co_ci_u32_e64 v15, s5, 0, v13, s5
	s_delay_alu instid0(VALU_DEP_3) | instskip(SKIP_2) | instid1(VALU_DEP_3)
	s_or_b32 vcc_lo, vcc_lo, s4
	v_dual_mov_b32 v9, v1 :: v_dual_mov_b32 v10, v2
	v_mov_b32_e32 v11, v3
	v_dual_cndmask_b32 v15, v13, v15 :: v_dual_cndmask_b32 v14, v39, v14
	v_mov_b32_e32 v13, v5
	s_cbranch_execnz .LBB20_2
	s_branch .LBB20_26
.LBB20_25:                              ;   in Loop: Header=BB20_4 Depth=1
                                        ; implicit-def: $vgpr8_vgpr9_vgpr10_vgpr11_vgpr12_vgpr13_vgpr14_vgpr15
.LBB20_26:                              ;   in Loop: Header=BB20_4 Depth=1
	v_add_co_u32 v8, vcc_lo, s20, v37
	v_add_co_ci_u32_e32 v9, vcc_lo, s21, v38, vcc_lo
	v_add_co_u32 v10, vcc_lo, s20, v33
	v_add_co_ci_u32_e32 v11, vcc_lo, s21, v34, vcc_lo
	global_load_b64 v[8:9], v[8:9], off offset:1536
	v_add_co_u32 v12, vcc_lo, s20, v29
	global_load_b64 v[10:11], v[10:11], off offset:1536
	v_add_co_ci_u32_e32 v13, vcc_lo, s21, v30, vcc_lo
	v_add_co_u32 v14, vcc_lo, s20, v25
	v_add_co_ci_u32_e32 v15, vcc_lo, s21, v26, vcc_lo
	s_clause 0x1
	global_load_b64 v[12:13], v[12:13], off offset:1536
	global_load_b64 v[14:15], v[14:15], off offset:1536
	s_waitcnt vmcnt(3)
	v_cmp_neq_f32_e32 vcc_lo, 0, v8
	v_cmp_neq_f32_e64 s4, 0, v9
	v_add_co_u32 v8, s5, v6, 1
	s_delay_alu instid0(VALU_DEP_1) | instskip(NEXT) | instid1(VALU_DEP_3)
	v_add_co_ci_u32_e64 v9, s5, 0, v7, s5
	s_or_b32 vcc_lo, vcc_lo, s4
	s_waitcnt vmcnt(2)
	v_cmp_neq_f32_e64 s4, 0, v11
	s_delay_alu instid0(VALU_DEP_2) | instskip(SKIP_1) | instid1(VALU_DEP_2)
	v_dual_cndmask_b32 v6, v6, v8 :: v_dual_cndmask_b32 v7, v7, v9
	v_cmp_neq_f32_e32 vcc_lo, 0, v10
	v_add_co_u32 v8, s5, v6, 1
	s_delay_alu instid0(VALU_DEP_1) | instskip(SKIP_3) | instid1(VALU_DEP_2)
	v_add_co_ci_u32_e64 v9, s5, 0, v7, s5
	s_or_b32 vcc_lo, vcc_lo, s4
	s_waitcnt vmcnt(1)
	v_cmp_neq_f32_e64 s4, 0, v13
	v_dual_cndmask_b32 v6, v6, v8 :: v_dual_cndmask_b32 v7, v7, v9
	v_cmp_neq_f32_e32 vcc_lo, 0, v12
	s_delay_alu instid0(VALU_DEP_2) | instskip(NEXT) | instid1(VALU_DEP_1)
	v_add_co_u32 v8, s5, v6, 1
	v_add_co_ci_u32_e64 v9, s5, 0, v7, s5
	s_or_b32 vcc_lo, vcc_lo, s4
	s_waitcnt vmcnt(0)
	v_cmp_neq_f32_e64 s4, 0, v15
	s_delay_alu instid0(VALU_DEP_2) | instskip(SKIP_1) | instid1(VALU_DEP_2)
	v_dual_cndmask_b32 v6, v6, v8 :: v_dual_cndmask_b32 v7, v7, v9
	v_cmp_neq_f32_e32 vcc_lo, 0, v14
	v_add_co_u32 v8, s5, v6, 1
	s_delay_alu instid0(VALU_DEP_1) | instskip(SKIP_1) | instid1(VALU_DEP_1)
	v_add_co_ci_u32_e64 v9, s5, 0, v7, s5
	s_or_b32 vcc_lo, vcc_lo, s4
	v_dual_cndmask_b32 v6, v6, v8 :: v_dual_cndmask_b32 v7, v7, v9
	s_delay_alu instid0(VALU_DEP_1)
	v_dual_mov_b32 v15, v7 :: v_dual_mov_b32 v14, v6
	v_dual_mov_b32 v13, v5 :: v_dual_mov_b32 v12, v4
	;; [unrolled: 1-line block ×4, first 2 shown]
	s_branch .LBB20_2
.LBB20_27:
	s_or_b32 exec_lo, exec_lo, s8
.LBB20_28:
	s_delay_alu instid0(SALU_CYCLE_1) | instskip(SKIP_1) | instid1(SALU_CYCLE_1)
	s_or_b32 exec_lo, exec_lo, s25
	s_sub_i32 s0, s18, s24
	s_cmp_lt_i32 s0, 1
	s_cbranch_scc1 .LBB20_126
; %bb.29:
	v_mov_b32_e32 v17, 0
	s_cmp_eq_u32 s16, 1
	v_ashrrev_i32_e32 v19, 31, v18
	s_cselect_b32 s2, -1, 0
	s_cmp_lg_u32 s16, 1
	v_lshlrev_b64 v[8:9], 3, v[16:17]
	s_cselect_b32 s1, -1, 0
	s_mov_b32 s3, exec_lo
	s_delay_alu instid0(VALU_DEP_1) | instskip(NEXT) | instid1(VALU_DEP_1)
	v_add_co_u32 v14, s0, s20, v8
	v_add_co_ci_u32_e64 v15, s0, s21, v9, s0
	v_cmpx_gt_i32_e64 s17, v18
	s_cbranch_execnz .LBB20_33
; %bb.30:
	s_or_b32 exec_lo, exec_lo, s3
	s_delay_alu instid0(SALU_CYCLE_1)
	s_mov_b32 s3, exec_lo
	v_cmpx_gt_i32_e64 s17, v24
	s_cbranch_execnz .LBB20_56
.LBB20_31:
	s_or_b32 exec_lo, exec_lo, s3
	s_delay_alu instid0(SALU_CYCLE_1)
	s_mov_b32 s3, exec_lo
	v_cmpx_gt_i32_e64 s17, v23
	s_cbranch_execnz .LBB20_79
.LBB20_32:
	s_or_b32 exec_lo, exec_lo, s3
	s_delay_alu instid0(SALU_CYCLE_1)
	s_mov_b32 s3, exec_lo
	v_cmpx_gt_i32_e64 s17, v22
	s_cbranch_execnz .LBB20_102
	s_branch .LBB20_125
.LBB20_33:
	v_mul_lo_u32 v10, v18, s23
	v_mul_lo_u32 v11, v19, s22
	v_mad_u64_u32 v[8:9], null, v18, s22, 0
	s_mov_b32 s4, exec_lo
	s_delay_alu instid0(VALU_DEP_1) | instskip(SKIP_1) | instid1(VALU_DEP_2)
	v_add3_u32 v9, v9, v10, v11
	v_lshlrev_b64 v[10:11], 3, v[18:19]
	v_lshlrev_b64 v[8:9], 3, v[8:9]
	s_delay_alu instid0(VALU_DEP_2) | instskip(NEXT) | instid1(VALU_DEP_3)
	v_add_co_u32 v17, vcc_lo, s20, v10
	v_add_co_ci_u32_e32 v25, vcc_lo, s21, v11, vcc_lo
	s_delay_alu instid0(VALU_DEP_3) | instskip(NEXT) | instid1(VALU_DEP_4)
	v_add_co_u32 v8, vcc_lo, v14, v8
	v_add_co_ci_u32_e32 v9, vcc_lo, v15, v9, vcc_lo
	v_cmpx_gt_i32_e64 s18, v16
	s_cbranch_execz .LBB20_37
; %bb.34:
	s_delay_alu instid0(VALU_DEP_2)
	v_dual_mov_b32 v11, v9 :: v_dual_mov_b32 v10, v8
	s_and_not1_b32 vcc_lo, exec_lo, s2
	s_cbranch_vccnz .LBB20_36
; %bb.35:
	v_mad_u64_u32 v[10:11], null, v16, s22, 0
	s_delay_alu instid0(VALU_DEP_1) | instskip(NEXT) | instid1(VALU_DEP_1)
	v_mad_u64_u32 v[12:13], null, v16, s23, v[11:12]
	v_mov_b32_e32 v11, v12
	s_delay_alu instid0(VALU_DEP_1) | instskip(NEXT) | instid1(VALU_DEP_1)
	v_lshlrev_b64 v[10:11], 3, v[10:11]
	v_add_co_u32 v10, vcc_lo, v17, v10
	s_delay_alu instid0(VALU_DEP_2)
	v_add_co_ci_u32_e32 v11, vcc_lo, v25, v11, vcc_lo
.LBB20_36:
	global_load_b64 v[10:11], v[10:11], off
	s_waitcnt vmcnt(0)
	v_cmp_neq_f32_e32 vcc_lo, 0, v10
	v_cmp_neq_f32_e64 s0, 0, v11
	s_delay_alu instid0(VALU_DEP_1) | instskip(NEXT) | instid1(SALU_CYCLE_1)
	s_or_b32 s0, vcc_lo, s0
	v_cndmask_b32_e64 v10, 0, 1, s0
	s_delay_alu instid0(VALU_DEP_1)
	v_add_co_u32 v0, vcc_lo, v0, v10
	v_add_co_ci_u32_e32 v1, vcc_lo, 0, v1, vcc_lo
.LBB20_37:
	s_or_b32 exec_lo, exec_lo, s4
	v_or_b32_e32 v26, 1, v16
	s_mov_b32 s4, exec_lo
	s_delay_alu instid0(VALU_DEP_1)
	v_cmpx_gt_i32_e64 s18, v26
	s_cbranch_execz .LBB20_43
; %bb.38:
	s_and_not1_b32 vcc_lo, exec_lo, s1
	s_cbranch_vccnz .LBB20_40
; %bb.39:
	v_add_co_u32 v10, vcc_lo, v8, 8
	v_add_co_ci_u32_e32 v11, vcc_lo, 0, v9, vcc_lo
	v_add_co_u32 v12, vcc_lo, v8, 12
	v_add_co_ci_u32_e32 v13, vcc_lo, 0, v9, vcc_lo
	s_cbranch_execz .LBB20_41
	s_branch .LBB20_42
.LBB20_40:
                                        ; implicit-def: $vgpr10_vgpr11
                                        ; implicit-def: $vgpr12_vgpr13
.LBB20_41:
	v_mad_u64_u32 v[10:11], null, v26, s22, 0
	s_delay_alu instid0(VALU_DEP_1) | instskip(NEXT) | instid1(VALU_DEP_1)
	v_mad_u64_u32 v[12:13], null, v26, s23, v[11:12]
	v_mov_b32_e32 v11, v12
	s_delay_alu instid0(VALU_DEP_1) | instskip(NEXT) | instid1(VALU_DEP_1)
	v_lshlrev_b64 v[10:11], 3, v[10:11]
	v_add_co_u32 v10, vcc_lo, v17, v10
	s_delay_alu instid0(VALU_DEP_2) | instskip(NEXT) | instid1(VALU_DEP_2)
	v_add_co_ci_u32_e32 v11, vcc_lo, v25, v11, vcc_lo
	v_add_co_u32 v12, vcc_lo, v10, 4
	s_delay_alu instid0(VALU_DEP_2)
	v_add_co_ci_u32_e32 v13, vcc_lo, 0, v11, vcc_lo
.LBB20_42:
	global_load_b32 v10, v[10:11], off
	global_load_b32 v11, v[12:13], off
	s_waitcnt vmcnt(1)
	v_cmp_neq_f32_e32 vcc_lo, 0, v10
	s_waitcnt vmcnt(0)
	v_cmp_neq_f32_e64 s0, 0, v11
	s_delay_alu instid0(VALU_DEP_1) | instskip(NEXT) | instid1(SALU_CYCLE_1)
	s_or_b32 s0, vcc_lo, s0
	v_cndmask_b32_e64 v10, 0, 1, s0
	s_delay_alu instid0(VALU_DEP_1)
	v_add_co_u32 v0, vcc_lo, v0, v10
	v_add_co_ci_u32_e32 v1, vcc_lo, 0, v1, vcc_lo
.LBB20_43:
	s_or_b32 exec_lo, exec_lo, s4
	v_or_b32_e32 v26, 2, v16
	s_mov_b32 s4, exec_lo
	s_delay_alu instid0(VALU_DEP_1)
	v_cmpx_gt_i32_e64 s18, v26
	s_cbranch_execz .LBB20_49
; %bb.44:
	s_and_not1_b32 vcc_lo, exec_lo, s1
	s_cbranch_vccnz .LBB20_46
; %bb.45:
	v_add_co_u32 v10, vcc_lo, v8, 16
	v_add_co_ci_u32_e32 v11, vcc_lo, 0, v9, vcc_lo
	v_add_co_u32 v12, vcc_lo, v8, 20
	v_add_co_ci_u32_e32 v13, vcc_lo, 0, v9, vcc_lo
	s_cbranch_execz .LBB20_47
	s_branch .LBB20_48
.LBB20_46:
                                        ; implicit-def: $vgpr10_vgpr11
                                        ; implicit-def: $vgpr12_vgpr13
.LBB20_47:
	v_mad_u64_u32 v[10:11], null, v26, s22, 0
	s_delay_alu instid0(VALU_DEP_1) | instskip(NEXT) | instid1(VALU_DEP_1)
	v_mad_u64_u32 v[12:13], null, v26, s23, v[11:12]
	v_mov_b32_e32 v11, v12
	s_delay_alu instid0(VALU_DEP_1) | instskip(NEXT) | instid1(VALU_DEP_1)
	v_lshlrev_b64 v[10:11], 3, v[10:11]
	v_add_co_u32 v10, vcc_lo, v17, v10
	s_delay_alu instid0(VALU_DEP_2) | instskip(NEXT) | instid1(VALU_DEP_2)
	v_add_co_ci_u32_e32 v11, vcc_lo, v25, v11, vcc_lo
	v_add_co_u32 v12, vcc_lo, v10, 4
	s_delay_alu instid0(VALU_DEP_2)
	v_add_co_ci_u32_e32 v13, vcc_lo, 0, v11, vcc_lo
.LBB20_48:
	global_load_b32 v10, v[10:11], off
	global_load_b32 v11, v[12:13], off
	s_waitcnt vmcnt(1)
	v_cmp_neq_f32_e32 vcc_lo, 0, v10
	s_waitcnt vmcnt(0)
	v_cmp_neq_f32_e64 s0, 0, v11
	s_delay_alu instid0(VALU_DEP_1) | instskip(NEXT) | instid1(SALU_CYCLE_1)
	s_or_b32 s0, vcc_lo, s0
	v_cndmask_b32_e64 v10, 0, 1, s0
	s_delay_alu instid0(VALU_DEP_1)
	v_add_co_u32 v0, vcc_lo, v0, v10
	v_add_co_ci_u32_e32 v1, vcc_lo, 0, v1, vcc_lo
.LBB20_49:
	s_or_b32 exec_lo, exec_lo, s4
	v_or_b32_e32 v12, 3, v16
	s_mov_b32 s4, exec_lo
	s_delay_alu instid0(VALU_DEP_1)
	v_cmpx_gt_i32_e64 s18, v12
	s_cbranch_execz .LBB20_55
; %bb.50:
	s_and_not1_b32 vcc_lo, exec_lo, s1
	s_cbranch_vccnz .LBB20_52
; %bb.51:
	v_add_co_u32 v10, vcc_lo, v8, 24
	v_add_co_ci_u32_e32 v11, vcc_lo, 0, v9, vcc_lo
	v_add_co_u32 v8, vcc_lo, v8, 28
	v_add_co_ci_u32_e32 v9, vcc_lo, 0, v9, vcc_lo
	s_cbranch_execz .LBB20_53
	s_branch .LBB20_54
.LBB20_52:
                                        ; implicit-def: $vgpr10_vgpr11
                                        ; implicit-def: $vgpr8_vgpr9
.LBB20_53:
	v_mad_u64_u32 v[8:9], null, v12, s22, 0
	s_delay_alu instid0(VALU_DEP_1) | instskip(NEXT) | instid1(VALU_DEP_1)
	v_mad_u64_u32 v[10:11], null, v12, s23, v[9:10]
	v_mov_b32_e32 v9, v10
	s_delay_alu instid0(VALU_DEP_1) | instskip(NEXT) | instid1(VALU_DEP_1)
	v_lshlrev_b64 v[8:9], 3, v[8:9]
	v_add_co_u32 v10, vcc_lo, v17, v8
	s_delay_alu instid0(VALU_DEP_2) | instskip(NEXT) | instid1(VALU_DEP_2)
	v_add_co_ci_u32_e32 v11, vcc_lo, v25, v9, vcc_lo
	v_add_co_u32 v8, vcc_lo, v10, 4
	s_delay_alu instid0(VALU_DEP_2)
	v_add_co_ci_u32_e32 v9, vcc_lo, 0, v11, vcc_lo
.LBB20_54:
	global_load_b32 v10, v[10:11], off
	global_load_b32 v8, v[8:9], off
	s_waitcnt vmcnt(1)
	v_cmp_neq_f32_e32 vcc_lo, 0, v10
	s_waitcnt vmcnt(0)
	v_cmp_neq_f32_e64 s0, 0, v8
	s_delay_alu instid0(VALU_DEP_1) | instskip(NEXT) | instid1(SALU_CYCLE_1)
	s_or_b32 s0, vcc_lo, s0
	v_cndmask_b32_e64 v8, 0, 1, s0
	s_delay_alu instid0(VALU_DEP_1)
	v_add_co_u32 v0, vcc_lo, v0, v8
	v_add_co_ci_u32_e32 v1, vcc_lo, 0, v1, vcc_lo
.LBB20_55:
	s_or_b32 exec_lo, exec_lo, s4
	s_delay_alu instid0(SALU_CYCLE_1) | instskip(NEXT) | instid1(SALU_CYCLE_1)
	s_or_b32 exec_lo, exec_lo, s3
	s_mov_b32 s3, exec_lo
	v_cmpx_gt_i32_e64 s17, v24
	s_cbranch_execz .LBB20_31
.LBB20_56:
	v_ashrrev_i32_e32 v10, 31, v24
	v_mul_lo_u32 v11, v24, s23
	v_mad_u64_u32 v[8:9], null, v24, s22, 0
	s_mov_b32 s4, exec_lo
	s_delay_alu instid0(VALU_DEP_3) | instskip(NEXT) | instid1(VALU_DEP_1)
	v_mul_lo_u32 v10, v10, s22
	v_add3_u32 v9, v9, v11, v10
	v_lshlrev_b64 v[10:11], 3, v[18:19]
	s_delay_alu instid0(VALU_DEP_2) | instskip(NEXT) | instid1(VALU_DEP_2)
	v_lshlrev_b64 v[8:9], 3, v[8:9]
	v_add_co_u32 v17, vcc_lo, s20, v10
	s_delay_alu instid0(VALU_DEP_3) | instskip(NEXT) | instid1(VALU_DEP_3)
	v_add_co_ci_u32_e32 v24, vcc_lo, s21, v11, vcc_lo
	v_add_co_u32 v8, vcc_lo, v14, v8
	s_delay_alu instid0(VALU_DEP_4)
	v_add_co_ci_u32_e32 v9, vcc_lo, v15, v9, vcc_lo
	v_cmpx_gt_i32_e64 s18, v16
	s_cbranch_execz .LBB20_60
; %bb.57:
	s_delay_alu instid0(VALU_DEP_2)
	v_dual_mov_b32 v11, v9 :: v_dual_mov_b32 v10, v8
	s_and_not1_b32 vcc_lo, exec_lo, s2
	s_cbranch_vccnz .LBB20_59
; %bb.58:
	v_mad_u64_u32 v[10:11], null, v16, s22, 0
	s_delay_alu instid0(VALU_DEP_1) | instskip(NEXT) | instid1(VALU_DEP_1)
	v_mad_u64_u32 v[12:13], null, v16, s23, v[11:12]
	v_mov_b32_e32 v11, v12
	s_delay_alu instid0(VALU_DEP_1) | instskip(NEXT) | instid1(VALU_DEP_1)
	v_lshlrev_b64 v[10:11], 3, v[10:11]
	v_add_co_u32 v10, vcc_lo, v17, v10
	s_delay_alu instid0(VALU_DEP_2) | instskip(NEXT) | instid1(VALU_DEP_2)
	v_add_co_ci_u32_e32 v11, vcc_lo, v24, v11, vcc_lo
	v_add_co_u32 v10, vcc_lo, 0x200, v10
	s_delay_alu instid0(VALU_DEP_2)
	v_add_co_ci_u32_e32 v11, vcc_lo, 0, v11, vcc_lo
.LBB20_59:
	global_load_b64 v[10:11], v[10:11], off
	s_waitcnt vmcnt(0)
	v_cmp_neq_f32_e32 vcc_lo, 0, v10
	v_cmp_neq_f32_e64 s0, 0, v11
	s_delay_alu instid0(VALU_DEP_1) | instskip(NEXT) | instid1(SALU_CYCLE_1)
	s_or_b32 s0, vcc_lo, s0
	v_cndmask_b32_e64 v10, 0, 1, s0
	s_delay_alu instid0(VALU_DEP_1)
	v_add_co_u32 v2, vcc_lo, v2, v10
	v_add_co_ci_u32_e32 v3, vcc_lo, 0, v3, vcc_lo
.LBB20_60:
	s_or_b32 exec_lo, exec_lo, s4
	v_or_b32_e32 v25, 1, v16
	s_mov_b32 s4, exec_lo
	s_delay_alu instid0(VALU_DEP_1)
	v_cmpx_gt_i32_e64 s18, v25
	s_cbranch_execz .LBB20_66
; %bb.61:
	s_and_not1_b32 vcc_lo, exec_lo, s1
	s_cbranch_vccnz .LBB20_63
; %bb.62:
	v_add_co_u32 v10, vcc_lo, v8, 8
	v_add_co_ci_u32_e32 v11, vcc_lo, 0, v9, vcc_lo
	v_add_co_u32 v12, vcc_lo, v8, 12
	v_add_co_ci_u32_e32 v13, vcc_lo, 0, v9, vcc_lo
	s_cbranch_execz .LBB20_64
	s_branch .LBB20_65
.LBB20_63:
                                        ; implicit-def: $vgpr10_vgpr11
                                        ; implicit-def: $vgpr12_vgpr13
.LBB20_64:
	v_mad_u64_u32 v[10:11], null, v25, s22, 0
	s_delay_alu instid0(VALU_DEP_1) | instskip(NEXT) | instid1(VALU_DEP_1)
	v_mad_u64_u32 v[12:13], null, v25, s23, v[11:12]
	v_mov_b32_e32 v11, v12
	s_delay_alu instid0(VALU_DEP_1) | instskip(NEXT) | instid1(VALU_DEP_1)
	v_lshlrev_b64 v[10:11], 3, v[10:11]
	v_add_co_u32 v12, vcc_lo, v17, v10
	s_delay_alu instid0(VALU_DEP_2) | instskip(NEXT) | instid1(VALU_DEP_2)
	v_add_co_ci_u32_e32 v13, vcc_lo, v24, v11, vcc_lo
	v_add_co_u32 v10, vcc_lo, 0x200, v12
	s_delay_alu instid0(VALU_DEP_2)
	v_add_co_ci_u32_e32 v11, vcc_lo, 0, v13, vcc_lo
	v_add_co_u32 v12, vcc_lo, 0x204, v12
	v_add_co_ci_u32_e32 v13, vcc_lo, 0, v13, vcc_lo
.LBB20_65:
	global_load_b32 v10, v[10:11], off
	global_load_b32 v11, v[12:13], off
	s_waitcnt vmcnt(1)
	v_cmp_neq_f32_e32 vcc_lo, 0, v10
	s_waitcnt vmcnt(0)
	v_cmp_neq_f32_e64 s0, 0, v11
	s_delay_alu instid0(VALU_DEP_1) | instskip(NEXT) | instid1(SALU_CYCLE_1)
	s_or_b32 s0, vcc_lo, s0
	v_cndmask_b32_e64 v10, 0, 1, s0
	s_delay_alu instid0(VALU_DEP_1)
	v_add_co_u32 v2, vcc_lo, v2, v10
	v_add_co_ci_u32_e32 v3, vcc_lo, 0, v3, vcc_lo
.LBB20_66:
	s_or_b32 exec_lo, exec_lo, s4
	v_or_b32_e32 v25, 2, v16
	s_mov_b32 s4, exec_lo
	s_delay_alu instid0(VALU_DEP_1)
	v_cmpx_gt_i32_e64 s18, v25
	s_cbranch_execz .LBB20_72
; %bb.67:
	s_and_not1_b32 vcc_lo, exec_lo, s1
	s_cbranch_vccnz .LBB20_69
; %bb.68:
	v_add_co_u32 v10, vcc_lo, v8, 16
	v_add_co_ci_u32_e32 v11, vcc_lo, 0, v9, vcc_lo
	v_add_co_u32 v12, vcc_lo, v8, 20
	v_add_co_ci_u32_e32 v13, vcc_lo, 0, v9, vcc_lo
	s_cbranch_execz .LBB20_70
	s_branch .LBB20_71
.LBB20_69:
                                        ; implicit-def: $vgpr10_vgpr11
                                        ; implicit-def: $vgpr12_vgpr13
.LBB20_70:
	v_mad_u64_u32 v[10:11], null, v25, s22, 0
	s_delay_alu instid0(VALU_DEP_1) | instskip(NEXT) | instid1(VALU_DEP_1)
	v_mad_u64_u32 v[12:13], null, v25, s23, v[11:12]
	v_mov_b32_e32 v11, v12
	s_delay_alu instid0(VALU_DEP_1) | instskip(NEXT) | instid1(VALU_DEP_1)
	v_lshlrev_b64 v[10:11], 3, v[10:11]
	v_add_co_u32 v12, vcc_lo, v17, v10
	s_delay_alu instid0(VALU_DEP_2) | instskip(NEXT) | instid1(VALU_DEP_2)
	v_add_co_ci_u32_e32 v13, vcc_lo, v24, v11, vcc_lo
	v_add_co_u32 v10, vcc_lo, 0x200, v12
	s_delay_alu instid0(VALU_DEP_2)
	v_add_co_ci_u32_e32 v11, vcc_lo, 0, v13, vcc_lo
	v_add_co_u32 v12, vcc_lo, 0x204, v12
	v_add_co_ci_u32_e32 v13, vcc_lo, 0, v13, vcc_lo
.LBB20_71:
	global_load_b32 v10, v[10:11], off
	global_load_b32 v11, v[12:13], off
	s_waitcnt vmcnt(1)
	v_cmp_neq_f32_e32 vcc_lo, 0, v10
	s_waitcnt vmcnt(0)
	v_cmp_neq_f32_e64 s0, 0, v11
	s_delay_alu instid0(VALU_DEP_1) | instskip(NEXT) | instid1(SALU_CYCLE_1)
	s_or_b32 s0, vcc_lo, s0
	v_cndmask_b32_e64 v10, 0, 1, s0
	s_delay_alu instid0(VALU_DEP_1)
	v_add_co_u32 v2, vcc_lo, v2, v10
	v_add_co_ci_u32_e32 v3, vcc_lo, 0, v3, vcc_lo
.LBB20_72:
	s_or_b32 exec_lo, exec_lo, s4
	v_or_b32_e32 v12, 3, v16
	s_mov_b32 s4, exec_lo
	s_delay_alu instid0(VALU_DEP_1)
	v_cmpx_gt_i32_e64 s18, v12
	s_cbranch_execz .LBB20_78
; %bb.73:
	s_and_not1_b32 vcc_lo, exec_lo, s1
	s_cbranch_vccnz .LBB20_75
; %bb.74:
	v_add_co_u32 v10, vcc_lo, v8, 24
	v_add_co_ci_u32_e32 v11, vcc_lo, 0, v9, vcc_lo
	v_add_co_u32 v8, vcc_lo, v8, 28
	v_add_co_ci_u32_e32 v9, vcc_lo, 0, v9, vcc_lo
	s_cbranch_execz .LBB20_76
	s_branch .LBB20_77
.LBB20_75:
                                        ; implicit-def: $vgpr10_vgpr11
                                        ; implicit-def: $vgpr8_vgpr9
.LBB20_76:
	v_mad_u64_u32 v[8:9], null, v12, s22, 0
	s_delay_alu instid0(VALU_DEP_1) | instskip(NEXT) | instid1(VALU_DEP_1)
	v_mad_u64_u32 v[10:11], null, v12, s23, v[9:10]
	v_mov_b32_e32 v9, v10
	s_delay_alu instid0(VALU_DEP_1) | instskip(NEXT) | instid1(VALU_DEP_1)
	v_lshlrev_b64 v[8:9], 3, v[8:9]
	v_add_co_u32 v8, vcc_lo, v17, v8
	s_delay_alu instid0(VALU_DEP_2) | instskip(NEXT) | instid1(VALU_DEP_2)
	v_add_co_ci_u32_e32 v9, vcc_lo, v24, v9, vcc_lo
	v_add_co_u32 v10, vcc_lo, 0x200, v8
	s_delay_alu instid0(VALU_DEP_2)
	v_add_co_ci_u32_e32 v11, vcc_lo, 0, v9, vcc_lo
	v_add_co_u32 v8, vcc_lo, 0x204, v8
	v_add_co_ci_u32_e32 v9, vcc_lo, 0, v9, vcc_lo
.LBB20_77:
	global_load_b32 v10, v[10:11], off
	global_load_b32 v8, v[8:9], off
	s_waitcnt vmcnt(1)
	v_cmp_neq_f32_e32 vcc_lo, 0, v10
	s_waitcnt vmcnt(0)
	v_cmp_neq_f32_e64 s0, 0, v8
	s_delay_alu instid0(VALU_DEP_1) | instskip(NEXT) | instid1(SALU_CYCLE_1)
	s_or_b32 s0, vcc_lo, s0
	v_cndmask_b32_e64 v8, 0, 1, s0
	s_delay_alu instid0(VALU_DEP_1)
	v_add_co_u32 v2, vcc_lo, v2, v8
	v_add_co_ci_u32_e32 v3, vcc_lo, 0, v3, vcc_lo
.LBB20_78:
	s_or_b32 exec_lo, exec_lo, s4
	s_delay_alu instid0(SALU_CYCLE_1) | instskip(NEXT) | instid1(SALU_CYCLE_1)
	s_or_b32 exec_lo, exec_lo, s3
	s_mov_b32 s3, exec_lo
	v_cmpx_gt_i32_e64 s17, v23
	s_cbranch_execz .LBB20_32
.LBB20_79:
	v_ashrrev_i32_e32 v10, 31, v23
	v_mul_lo_u32 v11, v23, s23
	v_mad_u64_u32 v[8:9], null, v23, s22, 0
	s_mov_b32 s4, exec_lo
	s_delay_alu instid0(VALU_DEP_3) | instskip(NEXT) | instid1(VALU_DEP_1)
	v_mul_lo_u32 v10, v10, s22
	v_add3_u32 v9, v9, v11, v10
	v_lshlrev_b64 v[10:11], 3, v[18:19]
	s_delay_alu instid0(VALU_DEP_2) | instskip(NEXT) | instid1(VALU_DEP_2)
	v_lshlrev_b64 v[8:9], 3, v[8:9]
	v_add_co_u32 v17, vcc_lo, s20, v10
	s_delay_alu instid0(VALU_DEP_3) | instskip(NEXT) | instid1(VALU_DEP_3)
	v_add_co_ci_u32_e32 v23, vcc_lo, s21, v11, vcc_lo
	v_add_co_u32 v8, vcc_lo, v14, v8
	s_delay_alu instid0(VALU_DEP_4)
	v_add_co_ci_u32_e32 v9, vcc_lo, v15, v9, vcc_lo
	v_cmpx_gt_i32_e64 s18, v16
	s_cbranch_execz .LBB20_83
; %bb.80:
	s_delay_alu instid0(VALU_DEP_2)
	v_dual_mov_b32 v11, v9 :: v_dual_mov_b32 v10, v8
	s_and_not1_b32 vcc_lo, exec_lo, s2
	s_cbranch_vccnz .LBB20_82
; %bb.81:
	v_mad_u64_u32 v[10:11], null, v16, s22, 0
	s_delay_alu instid0(VALU_DEP_1) | instskip(NEXT) | instid1(VALU_DEP_1)
	v_mad_u64_u32 v[12:13], null, v16, s23, v[11:12]
	v_mov_b32_e32 v11, v12
	s_delay_alu instid0(VALU_DEP_1) | instskip(NEXT) | instid1(VALU_DEP_1)
	v_lshlrev_b64 v[10:11], 3, v[10:11]
	v_add_co_u32 v10, vcc_lo, v17, v10
	s_delay_alu instid0(VALU_DEP_2) | instskip(NEXT) | instid1(VALU_DEP_2)
	v_add_co_ci_u32_e32 v11, vcc_lo, v23, v11, vcc_lo
	v_add_co_u32 v10, vcc_lo, 0x400, v10
	s_delay_alu instid0(VALU_DEP_2)
	v_add_co_ci_u32_e32 v11, vcc_lo, 0, v11, vcc_lo
.LBB20_82:
	global_load_b64 v[10:11], v[10:11], off
	s_waitcnt vmcnt(0)
	v_cmp_neq_f32_e32 vcc_lo, 0, v10
	v_cmp_neq_f32_e64 s0, 0, v11
	s_delay_alu instid0(VALU_DEP_1) | instskip(NEXT) | instid1(SALU_CYCLE_1)
	s_or_b32 s0, vcc_lo, s0
	v_cndmask_b32_e64 v10, 0, 1, s0
	s_delay_alu instid0(VALU_DEP_1)
	v_add_co_u32 v4, vcc_lo, v4, v10
	v_add_co_ci_u32_e32 v5, vcc_lo, 0, v5, vcc_lo
.LBB20_83:
	s_or_b32 exec_lo, exec_lo, s4
	v_or_b32_e32 v24, 1, v16
	s_mov_b32 s4, exec_lo
	s_delay_alu instid0(VALU_DEP_1)
	v_cmpx_gt_i32_e64 s18, v24
	s_cbranch_execz .LBB20_89
; %bb.84:
	s_and_not1_b32 vcc_lo, exec_lo, s1
	s_cbranch_vccnz .LBB20_86
; %bb.85:
	v_add_co_u32 v10, vcc_lo, v8, 8
	v_add_co_ci_u32_e32 v11, vcc_lo, 0, v9, vcc_lo
	v_add_co_u32 v12, vcc_lo, v8, 12
	v_add_co_ci_u32_e32 v13, vcc_lo, 0, v9, vcc_lo
	s_cbranch_execz .LBB20_87
	s_branch .LBB20_88
.LBB20_86:
                                        ; implicit-def: $vgpr10_vgpr11
                                        ; implicit-def: $vgpr12_vgpr13
.LBB20_87:
	v_mad_u64_u32 v[10:11], null, v24, s22, 0
	s_delay_alu instid0(VALU_DEP_1) | instskip(NEXT) | instid1(VALU_DEP_1)
	v_mad_u64_u32 v[12:13], null, v24, s23, v[11:12]
	v_mov_b32_e32 v11, v12
	s_delay_alu instid0(VALU_DEP_1) | instskip(NEXT) | instid1(VALU_DEP_1)
	v_lshlrev_b64 v[10:11], 3, v[10:11]
	v_add_co_u32 v12, vcc_lo, v17, v10
	s_delay_alu instid0(VALU_DEP_2) | instskip(NEXT) | instid1(VALU_DEP_2)
	v_add_co_ci_u32_e32 v13, vcc_lo, v23, v11, vcc_lo
	v_add_co_u32 v10, vcc_lo, 0x400, v12
	s_delay_alu instid0(VALU_DEP_2)
	v_add_co_ci_u32_e32 v11, vcc_lo, 0, v13, vcc_lo
	v_add_co_u32 v12, vcc_lo, 0x404, v12
	v_add_co_ci_u32_e32 v13, vcc_lo, 0, v13, vcc_lo
.LBB20_88:
	global_load_b32 v10, v[10:11], off
	global_load_b32 v11, v[12:13], off
	s_waitcnt vmcnt(1)
	v_cmp_neq_f32_e32 vcc_lo, 0, v10
	s_waitcnt vmcnt(0)
	v_cmp_neq_f32_e64 s0, 0, v11
	s_delay_alu instid0(VALU_DEP_1) | instskip(NEXT) | instid1(SALU_CYCLE_1)
	s_or_b32 s0, vcc_lo, s0
	v_cndmask_b32_e64 v10, 0, 1, s0
	s_delay_alu instid0(VALU_DEP_1)
	v_add_co_u32 v4, vcc_lo, v4, v10
	v_add_co_ci_u32_e32 v5, vcc_lo, 0, v5, vcc_lo
.LBB20_89:
	s_or_b32 exec_lo, exec_lo, s4
	v_or_b32_e32 v24, 2, v16
	s_mov_b32 s4, exec_lo
	s_delay_alu instid0(VALU_DEP_1)
	v_cmpx_gt_i32_e64 s18, v24
	s_cbranch_execz .LBB20_95
; %bb.90:
	s_and_not1_b32 vcc_lo, exec_lo, s1
	s_cbranch_vccnz .LBB20_92
; %bb.91:
	v_add_co_u32 v10, vcc_lo, v8, 16
	v_add_co_ci_u32_e32 v11, vcc_lo, 0, v9, vcc_lo
	v_add_co_u32 v12, vcc_lo, v8, 20
	v_add_co_ci_u32_e32 v13, vcc_lo, 0, v9, vcc_lo
	s_cbranch_execz .LBB20_93
	s_branch .LBB20_94
.LBB20_92:
                                        ; implicit-def: $vgpr10_vgpr11
                                        ; implicit-def: $vgpr12_vgpr13
.LBB20_93:
	v_mad_u64_u32 v[10:11], null, v24, s22, 0
	s_delay_alu instid0(VALU_DEP_1) | instskip(NEXT) | instid1(VALU_DEP_1)
	v_mad_u64_u32 v[12:13], null, v24, s23, v[11:12]
	v_mov_b32_e32 v11, v12
	s_delay_alu instid0(VALU_DEP_1) | instskip(NEXT) | instid1(VALU_DEP_1)
	v_lshlrev_b64 v[10:11], 3, v[10:11]
	v_add_co_u32 v12, vcc_lo, v17, v10
	s_delay_alu instid0(VALU_DEP_2) | instskip(NEXT) | instid1(VALU_DEP_2)
	v_add_co_ci_u32_e32 v13, vcc_lo, v23, v11, vcc_lo
	v_add_co_u32 v10, vcc_lo, 0x400, v12
	s_delay_alu instid0(VALU_DEP_2)
	v_add_co_ci_u32_e32 v11, vcc_lo, 0, v13, vcc_lo
	v_add_co_u32 v12, vcc_lo, 0x404, v12
	v_add_co_ci_u32_e32 v13, vcc_lo, 0, v13, vcc_lo
.LBB20_94:
	global_load_b32 v10, v[10:11], off
	global_load_b32 v11, v[12:13], off
	s_waitcnt vmcnt(1)
	v_cmp_neq_f32_e32 vcc_lo, 0, v10
	s_waitcnt vmcnt(0)
	v_cmp_neq_f32_e64 s0, 0, v11
	s_delay_alu instid0(VALU_DEP_1) | instskip(NEXT) | instid1(SALU_CYCLE_1)
	s_or_b32 s0, vcc_lo, s0
	v_cndmask_b32_e64 v10, 0, 1, s0
	s_delay_alu instid0(VALU_DEP_1)
	v_add_co_u32 v4, vcc_lo, v4, v10
	v_add_co_ci_u32_e32 v5, vcc_lo, 0, v5, vcc_lo
.LBB20_95:
	s_or_b32 exec_lo, exec_lo, s4
	v_or_b32_e32 v12, 3, v16
	s_mov_b32 s4, exec_lo
	s_delay_alu instid0(VALU_DEP_1)
	v_cmpx_gt_i32_e64 s18, v12
	s_cbranch_execz .LBB20_101
; %bb.96:
	s_and_not1_b32 vcc_lo, exec_lo, s1
	s_cbranch_vccnz .LBB20_98
; %bb.97:
	v_add_co_u32 v10, vcc_lo, v8, 24
	v_add_co_ci_u32_e32 v11, vcc_lo, 0, v9, vcc_lo
	v_add_co_u32 v8, vcc_lo, v8, 28
	v_add_co_ci_u32_e32 v9, vcc_lo, 0, v9, vcc_lo
	s_cbranch_execz .LBB20_99
	s_branch .LBB20_100
.LBB20_98:
                                        ; implicit-def: $vgpr10_vgpr11
                                        ; implicit-def: $vgpr8_vgpr9
.LBB20_99:
	v_mad_u64_u32 v[8:9], null, v12, s22, 0
	s_delay_alu instid0(VALU_DEP_1) | instskip(NEXT) | instid1(VALU_DEP_1)
	v_mad_u64_u32 v[10:11], null, v12, s23, v[9:10]
	v_mov_b32_e32 v9, v10
	s_delay_alu instid0(VALU_DEP_1) | instskip(NEXT) | instid1(VALU_DEP_1)
	v_lshlrev_b64 v[8:9], 3, v[8:9]
	v_add_co_u32 v8, vcc_lo, v17, v8
	s_delay_alu instid0(VALU_DEP_2) | instskip(NEXT) | instid1(VALU_DEP_2)
	v_add_co_ci_u32_e32 v9, vcc_lo, v23, v9, vcc_lo
	v_add_co_u32 v10, vcc_lo, 0x400, v8
	s_delay_alu instid0(VALU_DEP_2)
	v_add_co_ci_u32_e32 v11, vcc_lo, 0, v9, vcc_lo
	v_add_co_u32 v8, vcc_lo, 0x404, v8
	v_add_co_ci_u32_e32 v9, vcc_lo, 0, v9, vcc_lo
.LBB20_100:
	global_load_b32 v10, v[10:11], off
	global_load_b32 v8, v[8:9], off
	s_waitcnt vmcnt(1)
	v_cmp_neq_f32_e32 vcc_lo, 0, v10
	s_waitcnt vmcnt(0)
	v_cmp_neq_f32_e64 s0, 0, v8
	s_delay_alu instid0(VALU_DEP_1) | instskip(NEXT) | instid1(SALU_CYCLE_1)
	s_or_b32 s0, vcc_lo, s0
	v_cndmask_b32_e64 v8, 0, 1, s0
	s_delay_alu instid0(VALU_DEP_1)
	v_add_co_u32 v4, vcc_lo, v4, v8
	v_add_co_ci_u32_e32 v5, vcc_lo, 0, v5, vcc_lo
.LBB20_101:
	s_or_b32 exec_lo, exec_lo, s4
	s_delay_alu instid0(SALU_CYCLE_1) | instskip(NEXT) | instid1(SALU_CYCLE_1)
	s_or_b32 exec_lo, exec_lo, s3
	s_mov_b32 s3, exec_lo
	v_cmpx_gt_i32_e64 s17, v22
	s_cbranch_execz .LBB20_125
.LBB20_102:
	v_ashrrev_i32_e32 v10, 31, v22
	v_mul_lo_u32 v11, v22, s23
	v_mad_u64_u32 v[8:9], null, v22, s22, 0
	s_mov_b32 s4, exec_lo
	s_delay_alu instid0(VALU_DEP_3) | instskip(NEXT) | instid1(VALU_DEP_1)
	v_mul_lo_u32 v10, v10, s22
	v_add3_u32 v9, v9, v11, v10
	v_lshlrev_b64 v[10:11], 3, v[18:19]
	s_delay_alu instid0(VALU_DEP_2) | instskip(NEXT) | instid1(VALU_DEP_2)
	v_lshlrev_b64 v[8:9], 3, v[8:9]
	v_add_co_u32 v17, vcc_lo, s20, v10
	s_delay_alu instid0(VALU_DEP_3) | instskip(NEXT) | instid1(VALU_DEP_3)
	v_add_co_ci_u32_e32 v18, vcc_lo, s21, v11, vcc_lo
	v_add_co_u32 v8, vcc_lo, v14, v8
	s_delay_alu instid0(VALU_DEP_4)
	v_add_co_ci_u32_e32 v9, vcc_lo, v15, v9, vcc_lo
	v_cmpx_gt_i32_e64 s18, v16
	s_cbranch_execz .LBB20_106
; %bb.103:
	s_delay_alu instid0(VALU_DEP_2)
	v_dual_mov_b32 v11, v9 :: v_dual_mov_b32 v10, v8
	s_and_not1_b32 vcc_lo, exec_lo, s2
	s_cbranch_vccnz .LBB20_105
; %bb.104:
	v_mad_u64_u32 v[10:11], null, v16, s22, 0
	s_delay_alu instid0(VALU_DEP_1) | instskip(NEXT) | instid1(VALU_DEP_1)
	v_mad_u64_u32 v[12:13], null, v16, s23, v[11:12]
	v_mov_b32_e32 v11, v12
	s_delay_alu instid0(VALU_DEP_1) | instskip(NEXT) | instid1(VALU_DEP_1)
	v_lshlrev_b64 v[10:11], 3, v[10:11]
	v_add_co_u32 v10, vcc_lo, v17, v10
	s_delay_alu instid0(VALU_DEP_2) | instskip(NEXT) | instid1(VALU_DEP_2)
	v_add_co_ci_u32_e32 v11, vcc_lo, v18, v11, vcc_lo
	v_add_co_u32 v10, vcc_lo, 0x600, v10
	s_delay_alu instid0(VALU_DEP_2)
	v_add_co_ci_u32_e32 v11, vcc_lo, 0, v11, vcc_lo
.LBB20_105:
	global_load_b64 v[10:11], v[10:11], off
	s_waitcnt vmcnt(0)
	v_cmp_neq_f32_e32 vcc_lo, 0, v10
	v_cmp_neq_f32_e64 s0, 0, v11
	s_delay_alu instid0(VALU_DEP_1) | instskip(NEXT) | instid1(SALU_CYCLE_1)
	s_or_b32 s0, vcc_lo, s0
	v_cndmask_b32_e64 v10, 0, 1, s0
	s_delay_alu instid0(VALU_DEP_1)
	v_add_co_u32 v6, vcc_lo, v6, v10
	v_add_co_ci_u32_e32 v7, vcc_lo, 0, v7, vcc_lo
.LBB20_106:
	s_or_b32 exec_lo, exec_lo, s4
	v_or_b32_e32 v15, 1, v16
	v_cndmask_b32_e64 v14, 0, 1, s1
	s_mov_b32 s2, exec_lo
	s_delay_alu instid0(VALU_DEP_2)
	v_cmpx_gt_i32_e64 s18, v15
	s_cbranch_execz .LBB20_112
; %bb.107:
	s_and_not1_b32 vcc_lo, exec_lo, s1
	s_cbranch_vccnz .LBB20_109
; %bb.108:
	v_add_co_u32 v10, vcc_lo, v8, 8
	v_add_co_ci_u32_e32 v11, vcc_lo, 0, v9, vcc_lo
	v_add_co_u32 v12, vcc_lo, v8, 12
	v_add_co_ci_u32_e32 v13, vcc_lo, 0, v9, vcc_lo
	s_cbranch_execz .LBB20_110
	s_branch .LBB20_111
.LBB20_109:
                                        ; implicit-def: $vgpr10_vgpr11
                                        ; implicit-def: $vgpr12_vgpr13
.LBB20_110:
	v_mad_u64_u32 v[10:11], null, v15, s22, 0
	s_delay_alu instid0(VALU_DEP_1) | instskip(NEXT) | instid1(VALU_DEP_1)
	v_mad_u64_u32 v[12:13], null, v15, s23, v[11:12]
	v_mov_b32_e32 v11, v12
	s_delay_alu instid0(VALU_DEP_1) | instskip(NEXT) | instid1(VALU_DEP_1)
	v_lshlrev_b64 v[10:11], 3, v[10:11]
	v_add_co_u32 v12, vcc_lo, v17, v10
	s_delay_alu instid0(VALU_DEP_2) | instskip(NEXT) | instid1(VALU_DEP_2)
	v_add_co_ci_u32_e32 v13, vcc_lo, v18, v11, vcc_lo
	v_add_co_u32 v10, vcc_lo, 0x600, v12
	s_delay_alu instid0(VALU_DEP_2)
	v_add_co_ci_u32_e32 v11, vcc_lo, 0, v13, vcc_lo
	v_add_co_u32 v12, vcc_lo, 0x604, v12
	v_add_co_ci_u32_e32 v13, vcc_lo, 0, v13, vcc_lo
.LBB20_111:
	global_load_b32 v10, v[10:11], off
	global_load_b32 v11, v[12:13], off
	s_waitcnt vmcnt(1)
	v_cmp_neq_f32_e32 vcc_lo, 0, v10
	s_waitcnt vmcnt(0)
	v_cmp_neq_f32_e64 s0, 0, v11
	s_delay_alu instid0(VALU_DEP_1) | instskip(NEXT) | instid1(SALU_CYCLE_1)
	s_or_b32 s0, vcc_lo, s0
	v_cndmask_b32_e64 v10, 0, 1, s0
	s_delay_alu instid0(VALU_DEP_1)
	v_add_co_u32 v6, vcc_lo, v6, v10
	v_add_co_ci_u32_e32 v7, vcc_lo, 0, v7, vcc_lo
.LBB20_112:
	s_or_b32 exec_lo, exec_lo, s2
	v_or_b32_e32 v15, 2, v16
	s_mov_b32 s1, exec_lo
	s_delay_alu instid0(VALU_DEP_1)
	v_cmpx_gt_i32_e64 s18, v15
	s_cbranch_execz .LBB20_118
; %bb.113:
	v_cmp_ne_u32_e32 vcc_lo, 1, v14
	s_cbranch_vccnz .LBB20_115
; %bb.114:
	v_add_co_u32 v10, vcc_lo, v8, 16
	v_add_co_ci_u32_e32 v11, vcc_lo, 0, v9, vcc_lo
	v_add_co_u32 v12, vcc_lo, v8, 20
	v_add_co_ci_u32_e32 v13, vcc_lo, 0, v9, vcc_lo
	s_cbranch_execz .LBB20_116
	s_branch .LBB20_117
.LBB20_115:
                                        ; implicit-def: $vgpr10_vgpr11
                                        ; implicit-def: $vgpr12_vgpr13
.LBB20_116:
	v_mad_u64_u32 v[10:11], null, v15, s22, 0
	s_delay_alu instid0(VALU_DEP_1) | instskip(NEXT) | instid1(VALU_DEP_1)
	v_mad_u64_u32 v[12:13], null, v15, s23, v[11:12]
	v_mov_b32_e32 v11, v12
	s_delay_alu instid0(VALU_DEP_1) | instskip(NEXT) | instid1(VALU_DEP_1)
	v_lshlrev_b64 v[10:11], 3, v[10:11]
	v_add_co_u32 v12, vcc_lo, v17, v10
	s_delay_alu instid0(VALU_DEP_2) | instskip(NEXT) | instid1(VALU_DEP_2)
	v_add_co_ci_u32_e32 v13, vcc_lo, v18, v11, vcc_lo
	v_add_co_u32 v10, vcc_lo, 0x600, v12
	s_delay_alu instid0(VALU_DEP_2)
	v_add_co_ci_u32_e32 v11, vcc_lo, 0, v13, vcc_lo
	v_add_co_u32 v12, vcc_lo, 0x604, v12
	v_add_co_ci_u32_e32 v13, vcc_lo, 0, v13, vcc_lo
.LBB20_117:
	global_load_b32 v10, v[10:11], off
	global_load_b32 v11, v[12:13], off
	s_waitcnt vmcnt(1)
	v_cmp_neq_f32_e32 vcc_lo, 0, v10
	s_waitcnt vmcnt(0)
	v_cmp_neq_f32_e64 s0, 0, v11
	s_delay_alu instid0(VALU_DEP_1) | instskip(NEXT) | instid1(SALU_CYCLE_1)
	s_or_b32 s0, vcc_lo, s0
	v_cndmask_b32_e64 v10, 0, 1, s0
	s_delay_alu instid0(VALU_DEP_1)
	v_add_co_u32 v6, vcc_lo, v6, v10
	v_add_co_ci_u32_e32 v7, vcc_lo, 0, v7, vcc_lo
.LBB20_118:
	s_or_b32 exec_lo, exec_lo, s1
	v_or_b32_e32 v12, 3, v16
	s_mov_b32 s1, exec_lo
	s_delay_alu instid0(VALU_DEP_1)
	v_cmpx_gt_i32_e64 s18, v12
	s_cbranch_execz .LBB20_124
; %bb.119:
	v_cmp_ne_u32_e32 vcc_lo, 1, v14
	s_cbranch_vccnz .LBB20_121
; %bb.120:
	v_add_co_u32 v10, vcc_lo, v8, 24
	v_add_co_ci_u32_e32 v11, vcc_lo, 0, v9, vcc_lo
	v_add_co_u32 v8, vcc_lo, v8, 28
	v_add_co_ci_u32_e32 v9, vcc_lo, 0, v9, vcc_lo
	s_cbranch_execz .LBB20_122
	s_branch .LBB20_123
.LBB20_121:
                                        ; implicit-def: $vgpr10_vgpr11
                                        ; implicit-def: $vgpr8_vgpr9
.LBB20_122:
	v_mad_u64_u32 v[8:9], null, v12, s22, 0
	s_delay_alu instid0(VALU_DEP_1) | instskip(NEXT) | instid1(VALU_DEP_1)
	v_mad_u64_u32 v[10:11], null, v12, s23, v[9:10]
	v_mov_b32_e32 v9, v10
	s_delay_alu instid0(VALU_DEP_1) | instskip(NEXT) | instid1(VALU_DEP_1)
	v_lshlrev_b64 v[8:9], 3, v[8:9]
	v_add_co_u32 v8, vcc_lo, v17, v8
	s_delay_alu instid0(VALU_DEP_2) | instskip(NEXT) | instid1(VALU_DEP_2)
	v_add_co_ci_u32_e32 v9, vcc_lo, v18, v9, vcc_lo
	v_add_co_u32 v10, vcc_lo, 0x600, v8
	s_delay_alu instid0(VALU_DEP_2)
	v_add_co_ci_u32_e32 v11, vcc_lo, 0, v9, vcc_lo
	v_add_co_u32 v8, vcc_lo, 0x604, v8
	v_add_co_ci_u32_e32 v9, vcc_lo, 0, v9, vcc_lo
.LBB20_123:
	global_load_b32 v10, v[10:11], off
	global_load_b32 v8, v[8:9], off
	s_waitcnt vmcnt(1)
	v_cmp_neq_f32_e32 vcc_lo, 0, v10
	s_waitcnt vmcnt(0)
	v_cmp_neq_f32_e64 s0, 0, v8
	s_delay_alu instid0(VALU_DEP_1) | instskip(NEXT) | instid1(SALU_CYCLE_1)
	s_or_b32 s0, vcc_lo, s0
	v_cndmask_b32_e64 v8, 0, 1, s0
	s_delay_alu instid0(VALU_DEP_1)
	v_add_co_u32 v6, vcc_lo, v6, v8
	v_add_co_ci_u32_e32 v7, vcc_lo, 0, v7, vcc_lo
.LBB20_124:
	s_or_b32 exec_lo, exec_lo, s1
.LBB20_125:
	s_delay_alu instid0(SALU_CYCLE_1)
	s_or_b32 exec_lo, exec_lo, s3
.LBB20_126:
	v_lshlrev_b32_e32 v8, 2, v20
	s_mov_b32 s0, exec_lo
	s_delay_alu instid0(VALU_DEP_1) | instskip(NEXT) | instid1(VALU_DEP_1)
	v_and_or_b32 v8, 0x1fffff00, v8, v21
	v_lshlrev_b32_e32 v8, 3, v8
	ds_store_2addr_stride64_b64 v8, v[0:1], v[2:3] offset1:1
	ds_store_2addr_stride64_b64 v8, v[4:5], v[6:7] offset0:2 offset1:3
	s_waitcnt lgkmcnt(0)
	s_barrier
	buffer_gl0_inv
	v_cmpx_gt_u32_e32 0x100, v20
	s_cbranch_execz .LBB20_129
; %bb.127:
	v_lshlrev_b32_e32 v12, 3, v20
	ds_load_2addr_stride64_b64 v[0:3], v12 offset1:4
	ds_load_2addr_stride64_b64 v[4:7], v12 offset0:8 offset1:12
	ds_load_2addr_stride64_b64 v[8:11], v12 offset0:16 offset1:20
	s_waitcnt lgkmcnt(2)
	v_add_co_u32 v13, vcc_lo, v0, v2
	v_add_co_ci_u32_e32 v14, vcc_lo, v1, v3, vcc_lo
	ds_load_2addr_stride64_b64 v[0:3], v12 offset0:24 offset1:28
	s_waitcnt lgkmcnt(2)
	v_add_co_u32 v4, vcc_lo, v13, v4
	v_add_co_ci_u32_e32 v5, vcc_lo, v14, v5, vcc_lo
	s_delay_alu instid0(VALU_DEP_2) | instskip(NEXT) | instid1(VALU_DEP_2)
	v_add_co_u32 v13, vcc_lo, v4, v6
	v_add_co_ci_u32_e32 v14, vcc_lo, v5, v7, vcc_lo
	ds_load_2addr_stride64_b64 v[4:7], v12 offset0:32 offset1:36
	s_waitcnt lgkmcnt(2)
	v_add_co_u32 v8, vcc_lo, v13, v8
	v_add_co_ci_u32_e32 v9, vcc_lo, v14, v9, vcc_lo
	s_delay_alu instid0(VALU_DEP_2) | instskip(NEXT) | instid1(VALU_DEP_2)
	;; [unrolled: 7-line block ×5, first 2 shown]
	v_add_co_u32 v8, vcc_lo, v8, v10
	v_add_co_ci_u32_e32 v9, vcc_lo, v9, v11, vcc_lo
	s_waitcnt lgkmcnt(1)
	s_delay_alu instid0(VALU_DEP_2) | instskip(NEXT) | instid1(VALU_DEP_2)
	v_add_co_u32 v0, vcc_lo, v8, v0
	v_add_co_ci_u32_e32 v1, vcc_lo, v9, v1, vcc_lo
	s_delay_alu instid0(VALU_DEP_2) | instskip(NEXT) | instid1(VALU_DEP_2)
	v_add_co_u32 v0, vcc_lo, v0, v2
	v_add_co_ci_u32_e32 v1, vcc_lo, v1, v3, vcc_lo
	v_add_nc_u32_e32 v2, s19, v20
	s_waitcnt lgkmcnt(0)
	s_delay_alu instid0(VALU_DEP_3) | instskip(NEXT) | instid1(VALU_DEP_3)
	v_add_co_u32 v0, vcc_lo, v0, v4
	v_add_co_ci_u32_e32 v1, vcc_lo, v1, v5, vcc_lo
	s_delay_alu instid0(VALU_DEP_2) | instskip(NEXT) | instid1(VALU_DEP_2)
	v_add_co_u32 v0, vcc_lo, v0, v6
	v_add_co_ci_u32_e32 v1, vcc_lo, v1, v7, vcc_lo
	v_cmp_gt_i32_e32 vcc_lo, s17, v2
	ds_store_b64 v12, v[0:1]
	s_and_b32 exec_lo, exec_lo, vcc_lo
	s_cbranch_execz .LBB20_129
; %bb.128:
	v_ashrrev_i32_e32 v3, 31, v2
	s_delay_alu instid0(VALU_DEP_1) | instskip(NEXT) | instid1(VALU_DEP_1)
	v_lshlrev_b64 v[2:3], 3, v[2:3]
	v_add_co_u32 v2, vcc_lo, s6, v2
	s_delay_alu instid0(VALU_DEP_2)
	v_add_co_ci_u32_e32 v3, vcc_lo, s7, v3, vcc_lo
	global_store_b64 v[2:3], v[0:1], off
.LBB20_129:
	s_nop 0
	s_sendmsg sendmsg(MSG_DEALLOC_VGPRS)
	s_endpgm
	.section	.rodata,"a",@progbits
	.p2align	6, 0x0
	.amdhsa_kernel _ZN9rocsparseL14nnz_kernel_rowILi64ELi16Eli21rocsparse_complex_numIfEEEv16rocsparse_order_T2_S4_PKT3_lPT1_
		.amdhsa_group_segment_fixed_size 32768
		.amdhsa_private_segment_fixed_size 0
		.amdhsa_kernarg_size 296
		.amdhsa_user_sgpr_count 15
		.amdhsa_user_sgpr_dispatch_ptr 0
		.amdhsa_user_sgpr_queue_ptr 0
		.amdhsa_user_sgpr_kernarg_segment_ptr 1
		.amdhsa_user_sgpr_dispatch_id 0
		.amdhsa_user_sgpr_private_segment_size 0
		.amdhsa_wavefront_size32 1
		.amdhsa_uses_dynamic_stack 0
		.amdhsa_enable_private_segment 0
		.amdhsa_system_sgpr_workgroup_id_x 1
		.amdhsa_system_sgpr_workgroup_id_y 0
		.amdhsa_system_sgpr_workgroup_id_z 0
		.amdhsa_system_sgpr_workgroup_info 0
		.amdhsa_system_vgpr_workitem_id 1
		.amdhsa_next_free_vgpr 40
		.amdhsa_next_free_sgpr 26
		.amdhsa_reserve_vcc 1
		.amdhsa_float_round_mode_32 0
		.amdhsa_float_round_mode_16_64 0
		.amdhsa_float_denorm_mode_32 3
		.amdhsa_float_denorm_mode_16_64 3
		.amdhsa_dx10_clamp 1
		.amdhsa_ieee_mode 1
		.amdhsa_fp16_overflow 0
		.amdhsa_workgroup_processor_mode 1
		.amdhsa_memory_ordered 1
		.amdhsa_forward_progress 0
		.amdhsa_shared_vgpr_count 0
		.amdhsa_exception_fp_ieee_invalid_op 0
		.amdhsa_exception_fp_denorm_src 0
		.amdhsa_exception_fp_ieee_div_zero 0
		.amdhsa_exception_fp_ieee_overflow 0
		.amdhsa_exception_fp_ieee_underflow 0
		.amdhsa_exception_fp_ieee_inexact 0
		.amdhsa_exception_int_div_zero 0
	.end_amdhsa_kernel
	.section	.text._ZN9rocsparseL14nnz_kernel_rowILi64ELi16Eli21rocsparse_complex_numIfEEEv16rocsparse_order_T2_S4_PKT3_lPT1_,"axG",@progbits,_ZN9rocsparseL14nnz_kernel_rowILi64ELi16Eli21rocsparse_complex_numIfEEEv16rocsparse_order_T2_S4_PKT3_lPT1_,comdat
.Lfunc_end20:
	.size	_ZN9rocsparseL14nnz_kernel_rowILi64ELi16Eli21rocsparse_complex_numIfEEEv16rocsparse_order_T2_S4_PKT3_lPT1_, .Lfunc_end20-_ZN9rocsparseL14nnz_kernel_rowILi64ELi16Eli21rocsparse_complex_numIfEEEv16rocsparse_order_T2_S4_PKT3_lPT1_
                                        ; -- End function
	.section	.AMDGPU.csdata,"",@progbits
; Kernel info:
; codeLenInByte = 7888
; NumSgprs: 28
; NumVgprs: 40
; ScratchSize: 0
; MemoryBound: 0
; FloatMode: 240
; IeeeMode: 1
; LDSByteSize: 32768 bytes/workgroup (compile time only)
; SGPRBlocks: 3
; VGPRBlocks: 4
; NumSGPRsForWavesPerEU: 28
; NumVGPRsForWavesPerEU: 40
; Occupancy: 16
; WaveLimiterHint : 0
; COMPUTE_PGM_RSRC2:SCRATCH_EN: 0
; COMPUTE_PGM_RSRC2:USER_SGPR: 15
; COMPUTE_PGM_RSRC2:TRAP_HANDLER: 0
; COMPUTE_PGM_RSRC2:TGID_X_EN: 1
; COMPUTE_PGM_RSRC2:TGID_Y_EN: 0
; COMPUTE_PGM_RSRC2:TGID_Z_EN: 0
; COMPUTE_PGM_RSRC2:TIDIG_COMP_CNT: 1
	.section	.text._ZN9rocsparseL14nnz_kernel_colILi256Eli21rocsparse_complex_numIfEEEv16rocsparse_order_T1_S4_PKT2_lPT0_,"axG",@progbits,_ZN9rocsparseL14nnz_kernel_colILi256Eli21rocsparse_complex_numIfEEEv16rocsparse_order_T1_S4_PKT2_lPT0_,comdat
	.globl	_ZN9rocsparseL14nnz_kernel_colILi256Eli21rocsparse_complex_numIfEEEv16rocsparse_order_T1_S4_PKT2_lPT0_ ; -- Begin function _ZN9rocsparseL14nnz_kernel_colILi256Eli21rocsparse_complex_numIfEEEv16rocsparse_order_T1_S4_PKT2_lPT0_
	.p2align	8
	.type	_ZN9rocsparseL14nnz_kernel_colILi256Eli21rocsparse_complex_numIfEEEv16rocsparse_order_T1_S4_PKT2_lPT0_,@function
_ZN9rocsparseL14nnz_kernel_colILi256Eli21rocsparse_complex_numIfEEEv16rocsparse_order_T1_S4_PKT2_lPT0_: ; @_ZN9rocsparseL14nnz_kernel_colILi256Eli21rocsparse_complex_numIfEEEv16rocsparse_order_T1_S4_PKT2_lPT0_
; %bb.0:
	s_clause 0x1
	s_load_b64 s[10:11], s[0:1], 0x0
	s_load_b128 s[4:7], s[0:1], 0x10
	s_mov_b32 s8, s15
	s_waitcnt lgkmcnt(0)
	s_ashr_i32 s2, s11, 31
	s_delay_alu instid0(SALU_CYCLE_1) | instskip(NEXT) | instid1(SALU_CYCLE_1)
	s_lshr_b32 s2, s2, 24
	s_add_i32 s2, s11, s2
	s_delay_alu instid0(SALU_CYCLE_1)
	s_and_b32 s12, s2, 0xffffff00
	s_cmp_eq_u32 s10, 1
	s_cbranch_scc1 .LBB21_6
; %bb.1:
	v_mov_b32_e32 v1, 0
	v_mov_b32_e32 v2, 0
	s_cmpk_lt_i32 s11, 0x100
	s_cbranch_scc1 .LBB21_7
; %bb.2:
	v_mad_u64_u32 v[1:2], null, s6, v0, 0
	s_ashr_i32 s9, s8, 31
	s_delay_alu instid0(SALU_CYCLE_1) | instskip(NEXT) | instid1(SALU_CYCLE_1)
	s_lshl_b64 s[2:3], s[8:9], 3
	s_add_u32 s2, s4, s2
	s_addc_u32 s3, s5, s3
	s_delay_alu instid0(VALU_DEP_1) | instskip(SKIP_1) | instid1(VALU_DEP_1)
	v_mad_u64_u32 v[3:4], null, s7, v0, v[2:3]
	s_lshl_b64 s[14:15], s[6:7], 11
	v_mov_b32_e32 v2, v3
	s_delay_alu instid0(VALU_DEP_1) | instskip(NEXT) | instid1(VALU_DEP_1)
	v_lshlrev_b64 v[1:2], 3, v[1:2]
	v_add_co_u32 v3, vcc_lo, s2, v1
	s_delay_alu instid0(VALU_DEP_2) | instskip(SKIP_1) | instid1(VALU_DEP_3)
	v_add_co_ci_u32_e32 v4, vcc_lo, s3, v2, vcc_lo
	v_mov_b32_e32 v1, 0
	v_add_co_u32 v3, vcc_lo, v3, 4
	v_mov_b32_e32 v2, 0
	s_delay_alu instid0(VALU_DEP_4)
	v_add_co_ci_u32_e32 v4, vcc_lo, 0, v4, vcc_lo
	s_mov_b32 s3, 0
	s_branch .LBB21_4
	.p2align	6
.LBB21_3:                               ;   in Loop: Header=BB21_4 Depth=1
	s_or_b32 exec_lo, exec_lo, s9
	v_add_co_u32 v3, vcc_lo, v3, s14
	v_add_co_ci_u32_e32 v4, vcc_lo, s15, v4, vcc_lo
	s_addk_i32 s3, 0x100
	s_delay_alu instid0(SALU_CYCLE_1)
	s_cmp_ge_i32 s3, s12
	s_cbranch_scc1 .LBB21_7
.LBB21_4:                               ; =>This Inner Loop Header: Depth=1
	v_add_nc_u32_e32 v5, s3, v0
	s_mov_b32 s9, exec_lo
	s_delay_alu instid0(VALU_DEP_1)
	v_cmpx_gt_i32_e64 s11, v5
	s_cbranch_execz .LBB21_3
; %bb.5:                                ;   in Loop: Header=BB21_4 Depth=1
	global_load_b64 v[5:6], v[3:4], off offset:-4
	s_waitcnt vmcnt(0)
	v_cmp_neq_f32_e32 vcc_lo, 0, v5
	v_cmp_neq_f32_e64 s2, 0, v6
	s_delay_alu instid0(VALU_DEP_1) | instskip(NEXT) | instid1(SALU_CYCLE_1)
	s_or_b32 s2, vcc_lo, s2
	v_cndmask_b32_e64 v5, 0, 1, s2
	s_delay_alu instid0(VALU_DEP_1)
	v_add_co_u32 v1, vcc_lo, v1, v5
	v_add_co_ci_u32_e32 v2, vcc_lo, 0, v2, vcc_lo
	s_branch .LBB21_3
.LBB21_6:
	s_mov_b32 s10, 0
                                        ; implicit-def: $vgpr1_vgpr2
                                        ; implicit-def: $vgpr3_vgpr4
	s_cbranch_execnz .LBB21_10
	s_branch .LBB21_16
.LBB21_7:
	v_add_nc_u32_e32 v5, s12, v0
	s_mov_b32 s2, 0
	s_mov_b32 s10, 0
	s_mov_b32 s3, exec_lo
                                        ; implicit-def: $vgpr3_vgpr4
	s_delay_alu instid0(VALU_DEP_1)
	v_cmpx_gt_i32_e64 s11, v5
	s_xor_b32 s3, exec_lo, s3
	s_cbranch_execz .LBB21_9
; %bb.8:
	v_ashrrev_i32_e32 v6, 31, v5
	v_mul_lo_u32 v7, v5, s7
	v_mad_u64_u32 v[3:4], null, v5, s6, 0
	s_ashr_i32 s9, s8, 31
	s_delay_alu instid0(VALU_DEP_3) | instskip(SKIP_4) | instid1(VALU_DEP_1)
	v_mul_lo_u32 v5, v6, s6
	s_lshl_b64 s[14:15], s[8:9], 3
	s_mov_b32 s10, exec_lo
	s_add_u32 s9, s14, s4
	s_addc_u32 s13, s15, s5
	v_add3_u32 v4, v4, v7, v5
	s_delay_alu instid0(VALU_DEP_1) | instskip(NEXT) | instid1(VALU_DEP_1)
	v_lshlrev_b64 v[3:4], 3, v[3:4]
	v_add_co_u32 v3, vcc_lo, s9, v3
	s_delay_alu instid0(VALU_DEP_2)
	v_add_co_ci_u32_e32 v4, vcc_lo, s13, v4, vcc_lo
.LBB21_9:
	s_or_b32 exec_lo, exec_lo, s3
	s_delay_alu instid0(SALU_CYCLE_1)
	s_and_b32 vcc_lo, exec_lo, s2
	s_cbranch_vccz .LBB21_16
.LBB21_10:
	v_cmp_gt_i32_e32 vcc_lo, s11, v0
	s_mul_i32 s2, s8, s7
	s_mul_hi_u32 s3, s8, s6
	s_ashr_i32 s7, s8, 31
	v_mov_b32_e32 v1, 0
	v_dual_cndmask_b32 v3, 0, v0 :: v_dual_mov_b32 v2, 0
	s_add_i32 s2, s3, s2
	s_mul_i32 s7, s7, s6
	s_mul_i32 s6, s8, s6
	s_delay_alu instid0(VALU_DEP_1)
	v_lshlrev_b32_e32 v5, 3, v3
	s_add_i32 s7, s2, s7
	s_cmpk_lt_i32 s11, 0x100
	s_mov_b32 s9, 0
	s_cbranch_scc1 .LBB21_13
; %bb.11:
	s_lshl_b64 s[2:3], s[6:7], 3
	v_mov_b32_e32 v1, 0
	s_add_u32 s2, s4, s2
	s_addc_u32 s3, s5, s3
	v_add_co_u32 v3, s2, s2, v5
	s_delay_alu instid0(VALU_DEP_1) | instskip(SKIP_1) | instid1(VALU_DEP_3)
	v_add_co_ci_u32_e64 v4, null, s3, 0, s2
	v_mov_b32_e32 v2, 0
	v_add_co_u32 v3, vcc_lo, v3, 4
	s_delay_alu instid0(VALU_DEP_3)
	v_add_co_ci_u32_e32 v4, vcc_lo, 0, v4, vcc_lo
	.p2align	6
.LBB21_12:                              ; =>This Inner Loop Header: Depth=1
	global_load_b64 v[6:7], v[3:4], off offset:-4
	v_add_co_u32 v3, s3, 0x800, v3
	s_addk_i32 s9, 0x100
	s_waitcnt vmcnt(0)
	v_cmp_neq_f32_e32 vcc_lo, 0, v6
	v_cmp_neq_f32_e64 s2, 0, v7
	s_delay_alu instid0(VALU_DEP_1) | instskip(SKIP_3) | instid1(VALU_DEP_1)
	s_or_b32 s2, vcc_lo, s2
	v_add_co_ci_u32_e64 v4, vcc_lo, 0, v4, s3
	v_cndmask_b32_e64 v6, 0, 1, s2
	s_cmp_ge_i32 s9, s12
	v_add_co_u32 v1, vcc_lo, v1, v6
	v_add_co_ci_u32_e32 v2, vcc_lo, 0, v2, vcc_lo
	s_cbranch_scc0 .LBB21_12
.LBB21_13:
	v_add_nc_u32_e32 v3, s12, v0
	s_delay_alu instid0(VALU_DEP_1)
	v_cmp_gt_i32_e32 vcc_lo, s11, v3
                                        ; implicit-def: $vgpr3_vgpr4
	s_and_saveexec_b32 s2, vcc_lo
; %bb.14:
	s_lshl_b64 s[6:7], s[6:7], 3
	s_delay_alu instid0(SALU_CYCLE_1) | instskip(SKIP_2) | instid1(SALU_CYCLE_1)
	s_add_u32 s3, s4, s6
	s_addc_u32 s6, s5, s7
	s_ashr_i32 s13, s12, 31
	s_lshl_b64 s[4:5], s[12:13], 3
	s_delay_alu instid0(SALU_CYCLE_1) | instskip(SKIP_2) | instid1(VALU_DEP_1)
	s_add_u32 s3, s4, s3
	s_addc_u32 s4, s5, s6
	v_add_co_u32 v3, s3, s3, v5
	v_add_co_ci_u32_e64 v4, null, s4, 0, s3
	s_or_b32 s10, s10, exec_lo
; %bb.15:
	s_or_b32 exec_lo, exec_lo, s2
.LBB21_16:
	s_and_saveexec_b32 s3, s10
	s_cbranch_execz .LBB21_18
; %bb.17:
	global_load_b64 v[3:4], v[3:4], off
	s_waitcnt vmcnt(0)
	v_cmp_neq_f32_e32 vcc_lo, 0, v3
	v_cmp_neq_f32_e64 s2, 0, v4
	s_delay_alu instid0(VALU_DEP_1) | instskip(NEXT) | instid1(SALU_CYCLE_1)
	s_or_b32 s2, vcc_lo, s2
	v_cndmask_b32_e64 v3, 0, 1, s2
	s_delay_alu instid0(VALU_DEP_1)
	v_add_co_u32 v1, vcc_lo, v1, v3
	v_add_co_ci_u32_e32 v2, vcc_lo, 0, v2, vcc_lo
.LBB21_18:
	s_or_b32 exec_lo, exec_lo, s3
	v_lshlrev_b32_e32 v3, 3, v0
	v_cmp_eq_u32_e32 vcc_lo, 0, v0
	s_cmpk_lt_i32 s11, 0x100
	s_mov_b32 s2, -1
	ds_store_b64 v3, v[1:2]
	s_waitcnt lgkmcnt(0)
	s_cbranch_scc0 .LBB21_29
; %bb.19:
	s_cmp_gt_i32 s11, 1
	s_mov_b32 s4, 1
	s_cselect_b32 s2, -1, 0
	s_barrier
	s_and_b32 s3, vcc_lo, s2
	buffer_gl0_inv
	s_and_saveexec_b32 s2, s3
	s_cbranch_execz .LBB21_28
; %bb.20:
	v_mov_b32_e32 v1, 0
	s_add_i32 s5, s11, -2
	s_add_i32 s3, s11, -1
	s_cmp_lt_u32 s5, 7
	ds_load_b64 v[1:2], v1
	s_cbranch_scc1 .LBB21_24
; %bb.21:
	s_and_b32 s4, s3, -8
	s_mov_b32 s6, 0
	s_mov_b32 s5, 8
	s_set_inst_prefetch_distance 0x1
	.p2align	6
.LBB21_22:                              ; =>This Inner Loop Header: Depth=1
	v_mov_b32_e32 v16, s5
	s_mov_b32 s7, s6
	s_add_i32 s6, s6, 8
	s_add_i32 s5, s5, 64
	s_cmp_lg_u32 s4, s6
	ds_load_2addr_b64 v[4:7], v16 offset1:1
	ds_load_2addr_b64 v[8:11], v16 offset0:2 offset1:3
	ds_load_2addr_b64 v[12:15], v16 offset0:4 offset1:5
	s_waitcnt lgkmcnt(2)
	v_add_co_u32 v1, vcc_lo, v1, v4
	v_add_co_ci_u32_e32 v2, vcc_lo, v2, v5, vcc_lo
	s_delay_alu instid0(VALU_DEP_2) | instskip(NEXT) | instid1(VALU_DEP_2)
	v_add_co_u32 v1, vcc_lo, v1, v6
	v_add_co_ci_u32_e32 v2, vcc_lo, v2, v7, vcc_lo
	ds_load_2addr_b64 v[4:7], v16 offset0:6 offset1:7
	s_waitcnt lgkmcnt(2)
	v_add_co_u32 v1, vcc_lo, v1, v8
	v_add_co_ci_u32_e32 v2, vcc_lo, v2, v9, vcc_lo
	s_delay_alu instid0(VALU_DEP_2) | instskip(NEXT) | instid1(VALU_DEP_2)
	v_add_co_u32 v1, vcc_lo, v1, v10
	v_add_co_ci_u32_e32 v2, vcc_lo, v2, v11, vcc_lo
	s_waitcnt lgkmcnt(1)
	s_delay_alu instid0(VALU_DEP_2) | instskip(NEXT) | instid1(VALU_DEP_2)
	v_add_co_u32 v1, vcc_lo, v1, v12
	v_add_co_ci_u32_e32 v2, vcc_lo, v2, v13, vcc_lo
	s_delay_alu instid0(VALU_DEP_2) | instskip(NEXT) | instid1(VALU_DEP_2)
	v_add_co_u32 v1, vcc_lo, v1, v14
	v_add_co_ci_u32_e32 v2, vcc_lo, v2, v15, vcc_lo
	s_waitcnt lgkmcnt(0)
	s_delay_alu instid0(VALU_DEP_2) | instskip(NEXT) | instid1(VALU_DEP_2)
	v_add_co_u32 v1, vcc_lo, v1, v4
	v_add_co_ci_u32_e32 v2, vcc_lo, v2, v5, vcc_lo
	s_delay_alu instid0(VALU_DEP_2) | instskip(NEXT) | instid1(VALU_DEP_2)
	v_add_co_u32 v1, vcc_lo, v1, v6
	v_add_co_ci_u32_e32 v2, vcc_lo, v2, v7, vcc_lo
	s_cbranch_scc1 .LBB21_22
; %bb.23:
	s_set_inst_prefetch_distance 0x2
	s_add_i32 s4, s7, 9
.LBB21_24:
	s_and_b32 s3, s3, 7
	s_delay_alu instid0(SALU_CYCLE_1)
	s_cmp_eq_u32 s3, 0
	s_cbranch_scc1 .LBB21_27
; %bb.25:
	s_lshl_b32 s4, s4, 3
.LBB21_26:                              ; =>This Inner Loop Header: Depth=1
	s_delay_alu instid0(SALU_CYCLE_1)
	v_mov_b32_e32 v4, s4
	s_add_i32 s3, s3, -1
	s_add_i32 s4, s4, 8
	s_cmp_lg_u32 s3, 0
	ds_load_b64 v[4:5], v4
	s_waitcnt lgkmcnt(0)
	v_add_co_u32 v1, vcc_lo, v1, v4
	v_add_co_ci_u32_e32 v2, vcc_lo, v2, v5, vcc_lo
	s_cbranch_scc1 .LBB21_26
.LBB21_27:
	v_mov_b32_e32 v4, 0
	s_waitcnt lgkmcnt(0)
	ds_store_b64 v4, v[1:2]
.LBB21_28:
	s_or_b32 exec_lo, exec_lo, s2
	s_mov_b32 s2, 0
	s_waitcnt lgkmcnt(0)
	s_barrier
.LBB21_29:
	s_and_b32 vcc_lo, exec_lo, s2
	s_cbranch_vccz .LBB21_47
; %bb.30:
	s_mov_b32 s2, exec_lo
	s_barrier
	buffer_gl0_inv
	v_cmpx_gt_u32_e32 0x80, v0
	s_cbranch_execz .LBB21_32
; %bb.31:
	ds_load_2addr_stride64_b64 v[4:7], v3 offset1:2
	s_waitcnt lgkmcnt(0)
	v_add_co_u32 v1, vcc_lo, v4, v6
	v_add_co_ci_u32_e32 v2, vcc_lo, v5, v7, vcc_lo
	ds_store_b64 v3, v[1:2]
.LBB21_32:
	s_or_b32 exec_lo, exec_lo, s2
	s_delay_alu instid0(SALU_CYCLE_1)
	s_mov_b32 s2, exec_lo
	s_waitcnt lgkmcnt(0)
	s_barrier
	buffer_gl0_inv
	v_cmpx_gt_u32_e32 64, v0
	s_cbranch_execz .LBB21_34
; %bb.33:
	ds_load_2addr_stride64_b64 v[4:7], v3 offset1:1
	s_waitcnt lgkmcnt(0)
	v_add_co_u32 v1, vcc_lo, v4, v6
	v_add_co_ci_u32_e32 v2, vcc_lo, v5, v7, vcc_lo
	ds_store_b64 v3, v[1:2]
.LBB21_34:
	s_or_b32 exec_lo, exec_lo, s2
	s_delay_alu instid0(SALU_CYCLE_1)
	s_mov_b32 s2, exec_lo
	s_waitcnt lgkmcnt(0)
	s_barrier
	buffer_gl0_inv
	v_cmpx_gt_u32_e32 32, v0
	s_cbranch_execz .LBB21_36
; %bb.35:
	ds_load_2addr_b64 v[4:7], v3 offset1:32
	s_waitcnt lgkmcnt(0)
	v_add_co_u32 v1, vcc_lo, v4, v6
	v_add_co_ci_u32_e32 v2, vcc_lo, v5, v7, vcc_lo
	ds_store_b64 v3, v[1:2]
.LBB21_36:
	s_or_b32 exec_lo, exec_lo, s2
	s_delay_alu instid0(SALU_CYCLE_1)
	s_mov_b32 s2, exec_lo
	s_waitcnt lgkmcnt(0)
	s_barrier
	buffer_gl0_inv
	v_cmpx_gt_u32_e32 16, v0
	s_cbranch_execz .LBB21_38
; %bb.37:
	ds_load_2addr_b64 v[4:7], v3 offset1:16
	s_waitcnt lgkmcnt(0)
	v_add_co_u32 v1, vcc_lo, v4, v6
	v_add_co_ci_u32_e32 v2, vcc_lo, v5, v7, vcc_lo
	ds_store_b64 v3, v[1:2]
.LBB21_38:
	;; [unrolled: 15-line block ×5, first 2 shown]
	s_or_b32 exec_lo, exec_lo, s2
	s_delay_alu instid0(SALU_CYCLE_1)
	s_mov_b32 s2, exec_lo
	s_waitcnt lgkmcnt(0)
	s_barrier
	buffer_gl0_inv
	v_cmpx_eq_u32_e32 0, v0
	s_cbranch_execz .LBB21_46
; %bb.45:
	v_mov_b32_e32 v5, 0
	ds_load_b128 v[1:4], v5
	s_waitcnt lgkmcnt(0)
	v_add_co_u32 v1, vcc_lo, v1, v3
	v_add_co_ci_u32_e32 v2, vcc_lo, v2, v4, vcc_lo
	ds_store_b64 v5, v[1:2]
.LBB21_46:
	s_or_b32 exec_lo, exec_lo, s2
	s_waitcnt lgkmcnt(0)
	s_barrier
.LBB21_47:
	buffer_gl0_inv
	s_mov_b32 s2, exec_lo
	v_cmpx_eq_u32_e32 0, v0
	s_cbranch_execz .LBB21_49
; %bb.48:
	v_mov_b32_e32 v2, 0
	s_load_b64 s[0:1], s[0:1], 0x20
	s_ashr_i32 s9, s8, 31
	s_delay_alu instid0(SALU_CYCLE_1)
	s_lshl_b64 s[2:3], s[8:9], 3
	ds_load_b64 v[0:1], v2
	s_waitcnt lgkmcnt(0)
	s_add_u32 s0, s0, s2
	s_addc_u32 s1, s1, s3
	global_store_b64 v2, v[0:1], s[0:1]
.LBB21_49:
	s_nop 0
	s_sendmsg sendmsg(MSG_DEALLOC_VGPRS)
	s_endpgm
	.section	.rodata,"a",@progbits
	.p2align	6, 0x0
	.amdhsa_kernel _ZN9rocsparseL14nnz_kernel_colILi256Eli21rocsparse_complex_numIfEEEv16rocsparse_order_T1_S4_PKT2_lPT0_
		.amdhsa_group_segment_fixed_size 2048
		.amdhsa_private_segment_fixed_size 0
		.amdhsa_kernarg_size 40
		.amdhsa_user_sgpr_count 15
		.amdhsa_user_sgpr_dispatch_ptr 0
		.amdhsa_user_sgpr_queue_ptr 0
		.amdhsa_user_sgpr_kernarg_segment_ptr 1
		.amdhsa_user_sgpr_dispatch_id 0
		.amdhsa_user_sgpr_private_segment_size 0
		.amdhsa_wavefront_size32 1
		.amdhsa_uses_dynamic_stack 0
		.amdhsa_enable_private_segment 0
		.amdhsa_system_sgpr_workgroup_id_x 1
		.amdhsa_system_sgpr_workgroup_id_y 0
		.amdhsa_system_sgpr_workgroup_id_z 0
		.amdhsa_system_sgpr_workgroup_info 0
		.amdhsa_system_vgpr_workitem_id 0
		.amdhsa_next_free_vgpr 17
		.amdhsa_next_free_sgpr 16
		.amdhsa_reserve_vcc 1
		.amdhsa_float_round_mode_32 0
		.amdhsa_float_round_mode_16_64 0
		.amdhsa_float_denorm_mode_32 3
		.amdhsa_float_denorm_mode_16_64 3
		.amdhsa_dx10_clamp 1
		.amdhsa_ieee_mode 1
		.amdhsa_fp16_overflow 0
		.amdhsa_workgroup_processor_mode 1
		.amdhsa_memory_ordered 1
		.amdhsa_forward_progress 0
		.amdhsa_shared_vgpr_count 0
		.amdhsa_exception_fp_ieee_invalid_op 0
		.amdhsa_exception_fp_denorm_src 0
		.amdhsa_exception_fp_ieee_div_zero 0
		.amdhsa_exception_fp_ieee_overflow 0
		.amdhsa_exception_fp_ieee_underflow 0
		.amdhsa_exception_fp_ieee_inexact 0
		.amdhsa_exception_int_div_zero 0
	.end_amdhsa_kernel
	.section	.text._ZN9rocsparseL14nnz_kernel_colILi256Eli21rocsparse_complex_numIfEEEv16rocsparse_order_T1_S4_PKT2_lPT0_,"axG",@progbits,_ZN9rocsparseL14nnz_kernel_colILi256Eli21rocsparse_complex_numIfEEEv16rocsparse_order_T1_S4_PKT2_lPT0_,comdat
.Lfunc_end21:
	.size	_ZN9rocsparseL14nnz_kernel_colILi256Eli21rocsparse_complex_numIfEEEv16rocsparse_order_T1_S4_PKT2_lPT0_, .Lfunc_end21-_ZN9rocsparseL14nnz_kernel_colILi256Eli21rocsparse_complex_numIfEEEv16rocsparse_order_T1_S4_PKT2_lPT0_
                                        ; -- End function
	.section	.AMDGPU.csdata,"",@progbits
; Kernel info:
; codeLenInByte = 1860
; NumSgprs: 18
; NumVgprs: 17
; ScratchSize: 0
; MemoryBound: 0
; FloatMode: 240
; IeeeMode: 1
; LDSByteSize: 2048 bytes/workgroup (compile time only)
; SGPRBlocks: 2
; VGPRBlocks: 2
; NumSGPRsForWavesPerEU: 18
; NumVGPRsForWavesPerEU: 17
; Occupancy: 16
; WaveLimiterHint : 0
; COMPUTE_PGM_RSRC2:SCRATCH_EN: 0
; COMPUTE_PGM_RSRC2:USER_SGPR: 15
; COMPUTE_PGM_RSRC2:TRAP_HANDLER: 0
; COMPUTE_PGM_RSRC2:TGID_X_EN: 1
; COMPUTE_PGM_RSRC2:TGID_Y_EN: 0
; COMPUTE_PGM_RSRC2:TGID_Z_EN: 0
; COMPUTE_PGM_RSRC2:TIDIG_COMP_CNT: 0
	.section	.text._ZN9rocsparseL14nnz_kernel_rowILi64ELi16Eli21rocsparse_complex_numIdEEEv16rocsparse_order_T2_S4_PKT3_lPT1_,"axG",@progbits,_ZN9rocsparseL14nnz_kernel_rowILi64ELi16Eli21rocsparse_complex_numIdEEEv16rocsparse_order_T2_S4_PKT3_lPT1_,comdat
	.globl	_ZN9rocsparseL14nnz_kernel_rowILi64ELi16Eli21rocsparse_complex_numIdEEEv16rocsparse_order_T2_S4_PKT3_lPT1_ ; -- Begin function _ZN9rocsparseL14nnz_kernel_rowILi64ELi16Eli21rocsparse_complex_numIdEEEv16rocsparse_order_T2_S4_PKT3_lPT1_
	.p2align	8
	.type	_ZN9rocsparseL14nnz_kernel_rowILi64ELi16Eli21rocsparse_complex_numIdEEEv16rocsparse_order_T2_S4_PKT3_lPT1_,@function
_ZN9rocsparseL14nnz_kernel_rowILi64ELi16Eli21rocsparse_complex_numIdEEEv16rocsparse_order_T2_S4_PKT3_lPT1_: ; @_ZN9rocsparseL14nnz_kernel_rowILi64ELi16Eli21rocsparse_complex_numIdEEEv16rocsparse_order_T2_S4_PKT3_lPT1_
; %bb.0:
	s_clause 0x2
	s_load_b32 s2, s[0:1], 0x34
	s_load_b256 s[16:23], s[0:1], 0x0
	s_load_b64 s[12:13], s[0:1], 0x20
	s_mov_b32 s24, 0
	s_lshl_b32 s11, s15, 8
	s_mov_b32 s25, s24
	s_mov_b32 s26, s24
	;; [unrolled: 1-line block ×7, first 2 shown]
	v_and_b32_e32 v1, 0x3ff, v0
	v_bfe_u32 v0, v0, 10, 10
	s_mov_b32 s33, exec_lo
	s_waitcnt lgkmcnt(0)
	s_and_b32 s0, s2, 0xffff
	s_delay_alu instid0(VALU_DEP_1) | instid1(SALU_CYCLE_1)
	v_mad_u32_u24 v20, v0, s0, v1
	s_ashr_i32 s0, s18, 31
	s_delay_alu instid0(SALU_CYCLE_1) | instskip(NEXT) | instid1(SALU_CYCLE_1)
	s_lshr_b32 s0, s0, 26
	s_add_i32 s19, s18, s0
	s_delay_alu instid0(VALU_DEP_1) | instskip(SKIP_2) | instid1(VALU_DEP_2)
	v_lshrrev_b32_e32 v0, 4, v20
	v_and_b32_e32 v21, 63, v20
	s_and_not1_b32 s19, s19, 63
	v_and_b32_e32 v16, 0x7ffffc, v0
	v_dual_mov_b32 v0, s24 :: v_dual_mov_b32 v1, s25
	s_delay_alu instid0(VALU_DEP_3) | instskip(SKIP_3) | instid1(VALU_DEP_4)
	v_or_b32_e32 v18, s11, v21
	v_dual_mov_b32 v2, s26 :: v_dual_mov_b32 v3, s27
	v_dual_mov_b32 v4, s28 :: v_dual_mov_b32 v5, s29
	;; [unrolled: 1-line block ×3, first 2 shown]
	v_or_b32_e32 v24, 64, v18
	v_or_b32_e32 v23, 0x80, v18
	;; [unrolled: 1-line block ×3, first 2 shown]
	v_cmpx_gt_i32_e64 s19, v16
	s_cbranch_execz .LBB22_28
; %bb.1:
	v_lshrrev_b32_e32 v15, 6, v20
	v_and_b32_e32 v35, 0x7ffffc0, v20
	v_cmp_gt_i32_e64 s0, s17, v18
	v_cmp_gt_i32_e64 s1, s17, v24
	;; [unrolled: 1-line block ×3, first 2 shown]
	v_lshlrev_b32_e32 v27, 2, v15
	v_cmp_gt_i32_e64 s3, s17, v22
	s_cmp_lg_u32 s16, 1
	s_delay_alu instid0(VALU_DEP_2) | instskip(SKIP_1) | instid1(VALU_DEP_2)
	v_or_b32_e32 v12, 3, v27
	v_or_b32_e32 v19, 2, v27
	v_mad_u64_u32 v[2:3], null, s22, v12, 0
	v_add_nc_u32_e32 v0, s11, v21
	s_delay_alu instid0(VALU_DEP_3) | instskip(NEXT) | instid1(VALU_DEP_2)
	v_mad_u64_u32 v[8:9], null, s22, v19, 0
	v_ashrrev_i32_e32 v1, 31, v0
	s_delay_alu instid0(VALU_DEP_1)
	v_mul_lo_u32 v17, s22, v1
	v_lshlrev_b64 v[6:7], 4, v[0:1]
	v_mov_b32_e32 v1, v3
	v_mul_lo_u32 v13, s23, v0
	v_mad_u64_u32 v[4:5], null, s22, v0, 0
	v_add_nc_u32_e32 v14, 64, v0
	s_delay_alu instid0(VALU_DEP_4) | instskip(SKIP_1) | instid1(VALU_DEP_3)
	v_mad_u64_u32 v[10:11], null, s23, v12, v[1:2]
	v_dual_mov_b32 v1, v9 :: v_dual_add_nc_u32 v28, 0x80, v0
	v_ashrrev_i32_e32 v25, 31, v14
	v_add3_u32 v5, v5, v17, v13
	v_mul_lo_u32 v26, s23, v14
	v_mad_u64_u32 v[11:12], null, s22, v14, 0
	v_mov_b32_e32 v3, v10
	v_mul_lo_u32 v25, s22, v25
	v_lshlrev_b64 v[4:5], 4, v[4:5]
	v_mad_u64_u32 v[13:14], null, s22, v27, s[22:23]
	v_mad_u64_u32 v[9:10], null, s23, v19, v[1:2]
	v_lshlrev_b64 v[1:2], 4, v[2:3]
	s_delay_alu instid0(VALU_DEP_4)
	v_add_co_u32 v17, vcc_lo, v4, v35
	v_add3_u32 v12, v12, v25, v26
	v_add_co_ci_u32_e32 v19, vcc_lo, 0, v5, vcc_lo
	v_mad_u64_u32 v[4:5], null, s22, v28, 0
	v_ashrrev_i32_e32 v29, 31, v28
	v_add_co_u32 v25, vcc_lo, v1, v6
	v_mov_b32_e32 v3, v14
	v_add_co_ci_u32_e32 v26, vcc_lo, v2, v7, vcc_lo
	v_lshlrev_b64 v[1:2], 4, v[11:12]
	v_mul_lo_u32 v12, s22, v29
	v_mul_lo_u32 v14, s23, v28
	v_mad_u64_u32 v[10:11], null, s23, v27, v[3:4]
	v_add_nc_u32_e32 v11, 0xc0, v0
	v_add_co_u32 v27, vcc_lo, v1, v35
	v_add_co_ci_u32_e32 v28, vcc_lo, 0, v2, vcc_lo
	v_lshlrev_b64 v[2:3], 4, v[8:9]
	s_delay_alu instid0(VALU_DEP_4) | instskip(SKIP_3) | instid1(VALU_DEP_4)
	v_ashrrev_i32_e32 v29, 31, v11
	v_add3_u32 v5, v5, v12, v14
	v_mad_u64_u32 v[0:1], null, s22, v15, 0
	v_mul_lo_u32 v31, s23, v11
	v_mul_lo_u32 v12, s22, v29
	v_add_co_u32 v29, vcc_lo, v2, v6
	v_add_co_ci_u32_e32 v30, vcc_lo, v3, v7, vcc_lo
	v_lshlrev_b64 v[2:3], 4, v[4:5]
	v_mad_u64_u32 v[8:9], null, s22, v11, 0
	v_mov_b32_e32 v14, v10
	s_delay_alu instid0(VALU_DEP_3) | instskip(NEXT) | instid1(VALU_DEP_2)
	v_mad_u64_u32 v[4:5], null, s23, v15, v[1:2]
	v_lshlrev_b64 v[10:11], 4, v[13:14]
	s_delay_alu instid0(VALU_DEP_4) | instskip(SKIP_3) | instid1(VALU_DEP_4)
	v_add3_u32 v9, v9, v12, v31
	v_add_co_u32 v31, vcc_lo, v2, v35
	v_add_co_ci_u32_e32 v32, vcc_lo, 0, v3, vcc_lo
	v_mov_b32_e32 v1, v4
	v_lshlrev_b64 v[2:3], 4, v[8:9]
	v_add_co_u32 v33, vcc_lo, v10, v6
	v_add_co_ci_u32_e32 v34, vcc_lo, v11, v7, vcc_lo
	s_delay_alu instid0(VALU_DEP_4) | instskip(NEXT) | instid1(VALU_DEP_4)
	v_lshlrev_b64 v[0:1], 6, v[0:1]
	v_add_co_u32 v35, vcc_lo, v2, v35
	v_add_co_ci_u32_e32 v36, vcc_lo, 0, v3, vcc_lo
	s_delay_alu instid0(VALU_DEP_3) | instskip(NEXT) | instid1(VALU_DEP_4)
	v_add_co_u32 v37, vcc_lo, v0, v6
	v_add_co_ci_u32_e32 v38, vcc_lo, v1, v7, vcc_lo
	v_mov_b32_e32 v0, s24
	v_dual_mov_b32 v6, s30 :: v_dual_mov_b32 v1, s25
	v_dual_mov_b32 v2, s26 :: v_dual_mov_b32 v3, s27
	;; [unrolled: 1-line block ×3, first 2 shown]
	v_mov_b32_e32 v7, s31
	s_cselect_b32 s25, -1, 0
	s_lshl_b64 s[14:15], s[22:23], 10
	s_branch .LBB22_4
.LBB22_2:                               ;   in Loop: Header=BB22_4 Depth=1
	s_delay_alu instid0(VALU_DEP_1) | instskip(NEXT) | instid1(VALU_DEP_3)
	v_dual_mov_b32 v0, v8 :: v_dual_mov_b32 v1, v9
	v_dual_mov_b32 v2, v10 :: v_dual_mov_b32 v3, v11
	v_dual_mov_b32 v4, v12 :: v_dual_mov_b32 v5, v13
	v_dual_mov_b32 v6, v14 :: v_dual_mov_b32 v7, v15
.LBB22_3:                               ;   in Loop: Header=BB22_4 Depth=1
	s_or_b32 exec_lo, exec_lo, s26
	v_add_co_u32 v17, vcc_lo, 0x400, v17
	v_add_co_ci_u32_e32 v19, vcc_lo, 0, v19, vcc_lo
	v_add_co_u32 v25, vcc_lo, v25, s14
	v_add_co_ci_u32_e32 v26, vcc_lo, s15, v26, vcc_lo
	;; [unrolled: 2-line block ×5, first 2 shown]
	v_add_co_u32 v33, vcc_lo, v33, s14
	v_add_nc_u32_e32 v16, 64, v16
	v_add_co_ci_u32_e32 v34, vcc_lo, s15, v34, vcc_lo
	v_add_co_u32 v35, vcc_lo, 0x400, v35
	v_add_co_ci_u32_e32 v36, vcc_lo, 0, v36, vcc_lo
	s_delay_alu instid0(VALU_DEP_4) | instskip(SKIP_1) | instid1(VALU_DEP_1)
	v_cmp_le_i32_e32 vcc_lo, s19, v16
	v_add_co_u32 v37, s4, v37, s14
	v_add_co_ci_u32_e64 v38, s4, s15, v38, s4
	s_or_b32 s24, vcc_lo, s24
	s_delay_alu instid0(SALU_CYCLE_1)
	s_and_not1_b32 exec_lo, exec_lo, s24
	s_cbranch_execz .LBB22_27
.LBB22_4:                               ; =>This Inner Loop Header: Depth=1
	s_and_saveexec_b32 s26, s0
	s_cbranch_execnz .LBB22_8
; %bb.5:                                ;   in Loop: Header=BB22_4 Depth=1
	s_or_b32 exec_lo, exec_lo, s26
	s_and_saveexec_b32 s26, s1
	s_cbranch_execnz .LBB22_13
.LBB22_6:                               ;   in Loop: Header=BB22_4 Depth=1
	s_or_b32 exec_lo, exec_lo, s26
	s_and_saveexec_b32 s26, s2
	s_cbranch_execnz .LBB22_18
.LBB22_7:                               ;   in Loop: Header=BB22_4 Depth=1
	s_or_b32 exec_lo, exec_lo, s26
	s_and_saveexec_b32 s26, s3
	s_cbranch_execz .LBB22_3
	s_branch .LBB22_23
.LBB22_8:                               ;   in Loop: Header=BB22_4 Depth=1
	s_and_not1_b32 vcc_lo, exec_lo, s25
	s_cbranch_vccnz .LBB22_10
; %bb.9:                                ;   in Loop: Header=BB22_4 Depth=1
	v_add_co_u32 v43, vcc_lo, s20, v17
	v_add_co_ci_u32_e32 v44, vcc_lo, s21, v19, vcc_lo
	s_clause 0x3
	global_load_b128 v[8:11], v[43:44], off
	global_load_b128 v[12:15], v[43:44], off offset:16
	global_load_b128 v[39:42], v[43:44], off offset:32
	;; [unrolled: 1-line block ×3, first 2 shown]
	s_waitcnt vmcnt(3)
	v_cmp_neq_f64_e32 vcc_lo, 0, v[8:9]
	v_cmp_neq_f64_e64 s4, 0, v[10:11]
	s_waitcnt vmcnt(2)
	v_cmp_neq_f64_e64 s5, 0, v[12:13]
	v_cmp_neq_f64_e64 s6, 0, v[14:15]
	s_waitcnt vmcnt(1)
	v_cmp_neq_f64_e64 s7, 0, v[39:40]
	v_cmp_neq_f64_e64 s8, 0, v[41:42]
	v_add_co_u32 v8, s9, v0, 1
	s_delay_alu instid0(VALU_DEP_1)
	v_add_co_ci_u32_e64 v9, s9, 0, v1, s9
	s_waitcnt vmcnt(0)
	v_cmp_neq_f64_e64 s9, 0, v[43:44]
	v_cmp_neq_f64_e64 s10, 0, v[45:46]
	v_dual_mov_b32 v12, v4 :: v_dual_mov_b32 v13, v5
	s_or_b32 vcc_lo, vcc_lo, s4
	v_dual_cndmask_b32 v9, v1, v9 :: v_dual_cndmask_b32 v8, v0, v8
	s_delay_alu instid0(VALU_DEP_1) | instskip(NEXT) | instid1(VALU_DEP_2)
	v_add_co_u32 v10, vcc_lo, v8, 1
	v_add_co_ci_u32_e32 v11, vcc_lo, 0, v9, vcc_lo
	s_or_b32 vcc_lo, s5, s6
	s_delay_alu instid0(VALU_DEP_1) | instskip(NEXT) | instid1(VALU_DEP_1)
	v_dual_cndmask_b32 v8, v8, v10 :: v_dual_cndmask_b32 v9, v9, v11
	v_add_co_u32 v10, vcc_lo, v8, 1
	s_delay_alu instid0(VALU_DEP_2) | instskip(SKIP_1) | instid1(VALU_DEP_1)
	v_add_co_ci_u32_e32 v11, vcc_lo, 0, v9, vcc_lo
	s_or_b32 vcc_lo, s7, s8
	v_dual_cndmask_b32 v8, v8, v10 :: v_dual_cndmask_b32 v9, v9, v11
	v_dual_mov_b32 v10, v2 :: v_dual_mov_b32 v11, v3
	s_delay_alu instid0(VALU_DEP_2) | instskip(NEXT) | instid1(VALU_DEP_3)
	v_add_co_u32 v15, vcc_lo, v8, 1
	v_add_co_ci_u32_e32 v39, vcc_lo, 0, v9, vcc_lo
	s_or_b32 vcc_lo, s9, s10
	v_mov_b32_e32 v14, v6
	s_delay_alu instid0(VALU_DEP_3) | instskip(NEXT) | instid1(VALU_DEP_3)
	v_dual_cndmask_b32 v8, v8, v15 :: v_dual_mov_b32 v15, v7
	v_cndmask_b32_e32 v9, v9, v39, vcc_lo
	s_cbranch_execz .LBB22_11
	s_branch .LBB22_12
.LBB22_10:                              ;   in Loop: Header=BB22_4 Depth=1
                                        ; implicit-def: $vgpr8_vgpr9_vgpr10_vgpr11_vgpr12_vgpr13_vgpr14_vgpr15
.LBB22_11:                              ;   in Loop: Header=BB22_4 Depth=1
	v_add_co_u32 v8, vcc_lo, s20, v37
	v_add_co_ci_u32_e32 v9, vcc_lo, s21, v38, vcc_lo
	v_add_co_u32 v12, vcc_lo, s20, v33
	v_add_co_ci_u32_e32 v13, vcc_lo, s21, v34, vcc_lo
	global_load_b128 v[8:11], v[8:9], off
	v_add_co_u32 v39, vcc_lo, s20, v29
	global_load_b128 v[12:15], v[12:13], off
	v_add_co_ci_u32_e32 v40, vcc_lo, s21, v30, vcc_lo
	v_add_co_u32 v43, vcc_lo, s20, v25
	v_add_co_ci_u32_e32 v44, vcc_lo, s21, v26, vcc_lo
	s_clause 0x1
	global_load_b128 v[39:42], v[39:40], off
	global_load_b128 v[43:46], v[43:44], off
	s_waitcnt vmcnt(3)
	v_cmp_neq_f64_e32 vcc_lo, 0, v[8:9]
	v_cmp_neq_f64_e64 s4, 0, v[10:11]
	v_add_co_u32 v8, s9, v0, 1
	s_waitcnt vmcnt(2)
	v_cmp_neq_f64_e64 s5, 0, v[12:13]
	v_cmp_neq_f64_e64 s6, 0, v[14:15]
	v_add_co_ci_u32_e64 v9, s9, 0, v1, s9
	s_waitcnt vmcnt(1)
	v_cmp_neq_f64_e64 s7, 0, v[39:40]
	v_cmp_neq_f64_e64 s8, 0, v[41:42]
	s_waitcnt vmcnt(0)
	v_cmp_neq_f64_e64 s9, 0, v[43:44]
	v_cmp_neq_f64_e64 s10, 0, v[45:46]
	s_or_b32 vcc_lo, vcc_lo, s4
	v_dual_cndmask_b32 v1, v1, v9 :: v_dual_cndmask_b32 v0, v0, v8
	s_delay_alu instid0(VALU_DEP_1) | instskip(NEXT) | instid1(VALU_DEP_2)
	v_add_co_u32 v8, vcc_lo, v0, 1
	v_add_co_ci_u32_e32 v9, vcc_lo, 0, v1, vcc_lo
	s_or_b32 vcc_lo, s5, s6
	s_delay_alu instid0(VALU_DEP_1) | instskip(NEXT) | instid1(VALU_DEP_1)
	v_dual_cndmask_b32 v0, v0, v8 :: v_dual_cndmask_b32 v1, v1, v9
	v_add_co_u32 v8, vcc_lo, v0, 1
	s_delay_alu instid0(VALU_DEP_2) | instskip(SKIP_1) | instid1(VALU_DEP_1)
	v_add_co_ci_u32_e32 v9, vcc_lo, 0, v1, vcc_lo
	s_or_b32 vcc_lo, s7, s8
	v_dual_cndmask_b32 v0, v0, v8 :: v_dual_cndmask_b32 v1, v1, v9
	s_delay_alu instid0(VALU_DEP_1) | instskip(NEXT) | instid1(VALU_DEP_2)
	v_add_co_u32 v8, vcc_lo, v0, 1
	v_add_co_ci_u32_e32 v9, vcc_lo, 0, v1, vcc_lo
	s_or_b32 vcc_lo, s9, s10
	s_delay_alu instid0(VALU_DEP_1) | instskip(SKIP_3) | instid1(VALU_DEP_4)
	v_dual_cndmask_b32 v0, v0, v8 :: v_dual_cndmask_b32 v1, v1, v9
	v_dual_mov_b32 v15, v7 :: v_dual_mov_b32 v14, v6
	v_dual_mov_b32 v13, v5 :: v_dual_mov_b32 v12, v4
	;; [unrolled: 1-line block ×4, first 2 shown]
.LBB22_12:                              ;   in Loop: Header=BB22_4 Depth=1
	s_delay_alu instid0(VALU_DEP_1) | instskip(NEXT) | instid1(VALU_DEP_3)
	v_dual_mov_b32 v0, v8 :: v_dual_mov_b32 v1, v9
	v_dual_mov_b32 v2, v10 :: v_dual_mov_b32 v3, v11
	;; [unrolled: 1-line block ×4, first 2 shown]
	s_or_b32 exec_lo, exec_lo, s26
	s_and_saveexec_b32 s26, s1
	s_cbranch_execz .LBB22_6
.LBB22_13:                              ;   in Loop: Header=BB22_4 Depth=1
	s_and_not1_b32 vcc_lo, exec_lo, s25
	s_cbranch_vccnz .LBB22_15
; %bb.14:                               ;   in Loop: Header=BB22_4 Depth=1
	v_add_co_u32 v43, vcc_lo, s20, v27
	v_add_co_ci_u32_e32 v44, vcc_lo, s21, v28, vcc_lo
	s_clause 0x3
	global_load_b128 v[8:11], v[43:44], off
	global_load_b128 v[12:15], v[43:44], off offset:16
	global_load_b128 v[39:42], v[43:44], off offset:32
	;; [unrolled: 1-line block ×3, first 2 shown]
	s_waitcnt vmcnt(3)
	v_cmp_neq_f64_e32 vcc_lo, 0, v[8:9]
	v_cmp_neq_f64_e64 s4, 0, v[10:11]
	s_waitcnt vmcnt(2)
	v_cmp_neq_f64_e64 s5, 0, v[12:13]
	v_cmp_neq_f64_e64 s6, 0, v[14:15]
	s_waitcnt vmcnt(1)
	v_cmp_neq_f64_e64 s7, 0, v[39:40]
	v_cmp_neq_f64_e64 s8, 0, v[41:42]
	v_add_co_u32 v8, s9, v2, 1
	s_delay_alu instid0(VALU_DEP_1)
	v_add_co_ci_u32_e64 v9, s9, 0, v3, s9
	s_waitcnt vmcnt(0)
	v_cmp_neq_f64_e64 s9, 0, v[43:44]
	v_cmp_neq_f64_e64 s10, 0, v[45:46]
	v_dual_mov_b32 v12, v4 :: v_dual_mov_b32 v13, v5
	s_or_b32 vcc_lo, vcc_lo, s4
	v_dual_cndmask_b32 v9, v3, v9 :: v_dual_cndmask_b32 v8, v2, v8
	s_delay_alu instid0(VALU_DEP_1) | instskip(NEXT) | instid1(VALU_DEP_2)
	v_add_co_u32 v10, vcc_lo, v8, 1
	v_add_co_ci_u32_e32 v11, vcc_lo, 0, v9, vcc_lo
	s_or_b32 vcc_lo, s5, s6
	s_delay_alu instid0(VALU_DEP_1) | instskip(NEXT) | instid1(VALU_DEP_1)
	v_dual_cndmask_b32 v8, v8, v10 :: v_dual_cndmask_b32 v9, v9, v11
	v_add_co_u32 v10, vcc_lo, v8, 1
	s_delay_alu instid0(VALU_DEP_2) | instskip(SKIP_1) | instid1(VALU_DEP_1)
	v_add_co_ci_u32_e32 v11, vcc_lo, 0, v9, vcc_lo
	s_or_b32 vcc_lo, s7, s8
	v_dual_cndmask_b32 v10, v8, v10 :: v_dual_cndmask_b32 v11, v9, v11
	v_dual_mov_b32 v8, v0 :: v_dual_mov_b32 v9, v1
	s_delay_alu instid0(VALU_DEP_2) | instskip(NEXT) | instid1(VALU_DEP_3)
	v_add_co_u32 v15, vcc_lo, v10, 1
	v_add_co_ci_u32_e32 v39, vcc_lo, 0, v11, vcc_lo
	s_or_b32 vcc_lo, s9, s10
	v_mov_b32_e32 v14, v6
	s_delay_alu instid0(VALU_DEP_3) | instskip(NEXT) | instid1(VALU_DEP_3)
	v_dual_cndmask_b32 v10, v10, v15 :: v_dual_mov_b32 v15, v7
	v_cndmask_b32_e32 v11, v11, v39, vcc_lo
	s_cbranch_execz .LBB22_16
	s_branch .LBB22_17
.LBB22_15:                              ;   in Loop: Header=BB22_4 Depth=1
                                        ; implicit-def: $vgpr8_vgpr9_vgpr10_vgpr11_vgpr12_vgpr13_vgpr14_vgpr15
.LBB22_16:                              ;   in Loop: Header=BB22_4 Depth=1
	v_add_co_u32 v8, vcc_lo, s20, v37
	v_add_co_ci_u32_e32 v9, vcc_lo, s21, v38, vcc_lo
	v_add_co_u32 v12, vcc_lo, s20, v33
	v_add_co_ci_u32_e32 v13, vcc_lo, s21, v34, vcc_lo
	global_load_b128 v[8:11], v[8:9], off offset:1024
	v_add_co_u32 v39, vcc_lo, s20, v29
	global_load_b128 v[12:15], v[12:13], off offset:1024
	v_add_co_ci_u32_e32 v40, vcc_lo, s21, v30, vcc_lo
	v_add_co_u32 v43, vcc_lo, s20, v25
	v_add_co_ci_u32_e32 v44, vcc_lo, s21, v26, vcc_lo
	s_clause 0x1
	global_load_b128 v[39:42], v[39:40], off offset:1024
	global_load_b128 v[43:46], v[43:44], off offset:1024
	s_waitcnt vmcnt(3)
	v_cmp_neq_f64_e32 vcc_lo, 0, v[8:9]
	v_cmp_neq_f64_e64 s4, 0, v[10:11]
	v_add_co_u32 v8, s9, v2, 1
	s_waitcnt vmcnt(2)
	v_cmp_neq_f64_e64 s5, 0, v[12:13]
	v_cmp_neq_f64_e64 s6, 0, v[14:15]
	v_add_co_ci_u32_e64 v9, s9, 0, v3, s9
	s_waitcnt vmcnt(1)
	v_cmp_neq_f64_e64 s7, 0, v[39:40]
	v_cmp_neq_f64_e64 s8, 0, v[41:42]
	s_waitcnt vmcnt(0)
	v_cmp_neq_f64_e64 s9, 0, v[43:44]
	v_cmp_neq_f64_e64 s10, 0, v[45:46]
	s_or_b32 vcc_lo, vcc_lo, s4
	v_dual_cndmask_b32 v3, v3, v9 :: v_dual_cndmask_b32 v2, v2, v8
	s_delay_alu instid0(VALU_DEP_1) | instskip(NEXT) | instid1(VALU_DEP_2)
	v_add_co_u32 v8, vcc_lo, v2, 1
	v_add_co_ci_u32_e32 v9, vcc_lo, 0, v3, vcc_lo
	s_or_b32 vcc_lo, s5, s6
	s_delay_alu instid0(VALU_DEP_1) | instskip(NEXT) | instid1(VALU_DEP_1)
	v_dual_cndmask_b32 v2, v2, v8 :: v_dual_cndmask_b32 v3, v3, v9
	v_add_co_u32 v8, vcc_lo, v2, 1
	s_delay_alu instid0(VALU_DEP_2) | instskip(SKIP_1) | instid1(VALU_DEP_1)
	v_add_co_ci_u32_e32 v9, vcc_lo, 0, v3, vcc_lo
	s_or_b32 vcc_lo, s7, s8
	v_dual_cndmask_b32 v2, v2, v8 :: v_dual_cndmask_b32 v3, v3, v9
	s_delay_alu instid0(VALU_DEP_1) | instskip(NEXT) | instid1(VALU_DEP_2)
	v_add_co_u32 v8, vcc_lo, v2, 1
	v_add_co_ci_u32_e32 v9, vcc_lo, 0, v3, vcc_lo
	s_or_b32 vcc_lo, s9, s10
	s_delay_alu instid0(VALU_DEP_1) | instskip(SKIP_2) | instid1(VALU_DEP_3)
	v_dual_cndmask_b32 v2, v2, v8 :: v_dual_cndmask_b32 v3, v3, v9
	v_dual_mov_b32 v15, v7 :: v_dual_mov_b32 v14, v6
	v_dual_mov_b32 v13, v5 :: v_dual_mov_b32 v12, v4
	;; [unrolled: 1-line block ×4, first 2 shown]
.LBB22_17:                              ;   in Loop: Header=BB22_4 Depth=1
	s_delay_alu instid0(VALU_DEP_1) | instskip(NEXT) | instid1(VALU_DEP_2)
	v_dual_mov_b32 v0, v8 :: v_dual_mov_b32 v1, v9
	v_dual_mov_b32 v2, v10 :: v_dual_mov_b32 v3, v11
	;; [unrolled: 1-line block ×4, first 2 shown]
	s_or_b32 exec_lo, exec_lo, s26
	s_and_saveexec_b32 s26, s2
	s_cbranch_execz .LBB22_7
.LBB22_18:                              ;   in Loop: Header=BB22_4 Depth=1
	s_and_not1_b32 vcc_lo, exec_lo, s25
	s_cbranch_vccnz .LBB22_20
; %bb.19:                               ;   in Loop: Header=BB22_4 Depth=1
	v_add_co_u32 v43, vcc_lo, s20, v31
	v_add_co_ci_u32_e32 v44, vcc_lo, s21, v32, vcc_lo
	s_clause 0x3
	global_load_b128 v[8:11], v[43:44], off
	global_load_b128 v[12:15], v[43:44], off offset:16
	global_load_b128 v[39:42], v[43:44], off offset:32
	;; [unrolled: 1-line block ×3, first 2 shown]
	s_waitcnt vmcnt(3)
	v_cmp_neq_f64_e32 vcc_lo, 0, v[8:9]
	v_cmp_neq_f64_e64 s4, 0, v[10:11]
	s_waitcnt vmcnt(2)
	v_cmp_neq_f64_e64 s5, 0, v[12:13]
	v_cmp_neq_f64_e64 s6, 0, v[14:15]
	s_waitcnt vmcnt(1)
	v_cmp_neq_f64_e64 s7, 0, v[39:40]
	v_cmp_neq_f64_e64 s8, 0, v[41:42]
	v_add_co_u32 v8, s9, v4, 1
	s_delay_alu instid0(VALU_DEP_1)
	v_add_co_ci_u32_e64 v9, s9, 0, v5, s9
	s_waitcnt vmcnt(0)
	v_cmp_neq_f64_e64 s9, 0, v[43:44]
	v_cmp_neq_f64_e64 s10, 0, v[45:46]
	s_or_b32 vcc_lo, vcc_lo, s4
	v_dual_cndmask_b32 v9, v5, v9 :: v_dual_cndmask_b32 v8, v4, v8
	s_delay_alu instid0(VALU_DEP_1) | instskip(NEXT) | instid1(VALU_DEP_2)
	v_add_co_u32 v10, vcc_lo, v8, 1
	v_add_co_ci_u32_e32 v11, vcc_lo, 0, v9, vcc_lo
	s_or_b32 vcc_lo, s5, s6
	s_delay_alu instid0(VALU_DEP_1) | instskip(NEXT) | instid1(VALU_DEP_1)
	v_dual_cndmask_b32 v8, v8, v10 :: v_dual_cndmask_b32 v9, v9, v11
	v_add_co_u32 v10, vcc_lo, v8, 1
	s_delay_alu instid0(VALU_DEP_2) | instskip(SKIP_1) | instid1(VALU_DEP_1)
	v_add_co_ci_u32_e32 v11, vcc_lo, 0, v9, vcc_lo
	s_or_b32 vcc_lo, s7, s8
	v_dual_cndmask_b32 v15, v8, v10 :: v_dual_cndmask_b32 v12, v9, v11
	v_dual_mov_b32 v8, v0 :: v_dual_mov_b32 v9, v1
	v_dual_mov_b32 v10, v2 :: v_dual_mov_b32 v11, v3
	s_delay_alu instid0(VALU_DEP_3) | instskip(NEXT) | instid1(VALU_DEP_4)
	v_add_co_u32 v39, vcc_lo, v15, 1
	v_add_co_ci_u32_e32 v13, vcc_lo, 0, v12, vcc_lo
	s_or_b32 vcc_lo, s9, s10
	s_delay_alu instid0(VALU_DEP_1) | instskip(NEXT) | instid1(VALU_DEP_3)
	v_dual_mov_b32 v14, v6 :: v_dual_cndmask_b32 v13, v12, v13
	v_cndmask_b32_e32 v12, v15, v39, vcc_lo
	v_mov_b32_e32 v15, v7
	s_cbranch_execz .LBB22_21
	s_branch .LBB22_22
.LBB22_20:                              ;   in Loop: Header=BB22_4 Depth=1
                                        ; implicit-def: $vgpr8_vgpr9_vgpr10_vgpr11_vgpr12_vgpr13_vgpr14_vgpr15
.LBB22_21:                              ;   in Loop: Header=BB22_4 Depth=1
	v_add_co_u32 v8, vcc_lo, s20, v37
	v_add_co_ci_u32_e32 v9, vcc_lo, s21, v38, vcc_lo
	v_add_co_u32 v12, vcc_lo, s20, v33
	v_add_co_ci_u32_e32 v13, vcc_lo, s21, v34, vcc_lo
	global_load_b128 v[8:11], v[8:9], off offset:2048
	v_add_co_u32 v39, vcc_lo, s20, v29
	global_load_b128 v[12:15], v[12:13], off offset:2048
	v_add_co_ci_u32_e32 v40, vcc_lo, s21, v30, vcc_lo
	v_add_co_u32 v43, vcc_lo, s20, v25
	v_add_co_ci_u32_e32 v44, vcc_lo, s21, v26, vcc_lo
	s_clause 0x1
	global_load_b128 v[39:42], v[39:40], off offset:2048
	global_load_b128 v[43:46], v[43:44], off offset:2048
	s_waitcnt vmcnt(3)
	v_cmp_neq_f64_e32 vcc_lo, 0, v[8:9]
	v_cmp_neq_f64_e64 s4, 0, v[10:11]
	v_add_co_u32 v8, s9, v4, 1
	s_waitcnt vmcnt(2)
	v_cmp_neq_f64_e64 s5, 0, v[12:13]
	v_cmp_neq_f64_e64 s6, 0, v[14:15]
	v_add_co_ci_u32_e64 v9, s9, 0, v5, s9
	s_waitcnt vmcnt(1)
	v_cmp_neq_f64_e64 s7, 0, v[39:40]
	v_cmp_neq_f64_e64 s8, 0, v[41:42]
	s_waitcnt vmcnt(0)
	v_cmp_neq_f64_e64 s9, 0, v[43:44]
	v_cmp_neq_f64_e64 s10, 0, v[45:46]
	s_or_b32 vcc_lo, vcc_lo, s4
	v_dual_cndmask_b32 v5, v5, v9 :: v_dual_cndmask_b32 v4, v4, v8
	s_delay_alu instid0(VALU_DEP_1) | instskip(NEXT) | instid1(VALU_DEP_2)
	v_add_co_u32 v8, vcc_lo, v4, 1
	v_add_co_ci_u32_e32 v9, vcc_lo, 0, v5, vcc_lo
	s_or_b32 vcc_lo, s5, s6
	s_delay_alu instid0(VALU_DEP_1) | instskip(NEXT) | instid1(VALU_DEP_1)
	v_dual_cndmask_b32 v4, v4, v8 :: v_dual_cndmask_b32 v5, v5, v9
	v_add_co_u32 v8, vcc_lo, v4, 1
	s_delay_alu instid0(VALU_DEP_2) | instskip(SKIP_1) | instid1(VALU_DEP_1)
	v_add_co_ci_u32_e32 v9, vcc_lo, 0, v5, vcc_lo
	s_or_b32 vcc_lo, s7, s8
	v_dual_cndmask_b32 v4, v4, v8 :: v_dual_cndmask_b32 v5, v5, v9
	s_delay_alu instid0(VALU_DEP_1) | instskip(NEXT) | instid1(VALU_DEP_2)
	v_add_co_u32 v8, vcc_lo, v4, 1
	v_add_co_ci_u32_e32 v9, vcc_lo, 0, v5, vcc_lo
	s_or_b32 vcc_lo, s9, s10
	s_delay_alu instid0(VALU_DEP_1) | instskip(SKIP_2) | instid1(VALU_DEP_3)
	v_dual_cndmask_b32 v4, v4, v8 :: v_dual_cndmask_b32 v5, v5, v9
	v_dual_mov_b32 v15, v7 :: v_dual_mov_b32 v14, v6
	v_dual_mov_b32 v11, v3 :: v_dual_mov_b32 v10, v2
	;; [unrolled: 1-line block ×4, first 2 shown]
.LBB22_22:                              ;   in Loop: Header=BB22_4 Depth=1
	s_delay_alu instid0(VALU_DEP_1) | instskip(NEXT) | instid1(VALU_DEP_4)
	v_dual_mov_b32 v0, v8 :: v_dual_mov_b32 v1, v9
	v_dual_mov_b32 v2, v10 :: v_dual_mov_b32 v3, v11
	s_delay_alu instid0(VALU_DEP_4)
	v_dual_mov_b32 v4, v12 :: v_dual_mov_b32 v5, v13
	v_dual_mov_b32 v6, v14 :: v_dual_mov_b32 v7, v15
	s_or_b32 exec_lo, exec_lo, s26
	s_and_saveexec_b32 s26, s3
	s_cbranch_execz .LBB22_3
.LBB22_23:                              ;   in Loop: Header=BB22_4 Depth=1
	s_and_not1_b32 vcc_lo, exec_lo, s25
	s_cbranch_vccnz .LBB22_25
; %bb.24:                               ;   in Loop: Header=BB22_4 Depth=1
	v_add_co_u32 v43, vcc_lo, s20, v35
	v_add_co_ci_u32_e32 v44, vcc_lo, s21, v36, vcc_lo
	s_clause 0x3
	global_load_b128 v[8:11], v[43:44], off
	global_load_b128 v[12:15], v[43:44], off offset:16
	global_load_b128 v[39:42], v[43:44], off offset:32
	global_load_b128 v[43:46], v[43:44], off offset:48
	s_waitcnt vmcnt(3)
	v_cmp_neq_f64_e32 vcc_lo, 0, v[8:9]
	v_cmp_neq_f64_e64 s4, 0, v[10:11]
	s_waitcnt vmcnt(2)
	v_cmp_neq_f64_e64 s5, 0, v[12:13]
	v_cmp_neq_f64_e64 s6, 0, v[14:15]
	s_waitcnt vmcnt(1)
	v_cmp_neq_f64_e64 s7, 0, v[39:40]
	v_cmp_neq_f64_e64 s8, 0, v[41:42]
	v_add_co_u32 v8, s9, v6, 1
	s_delay_alu instid0(VALU_DEP_1)
	v_add_co_ci_u32_e64 v9, s9, 0, v7, s9
	s_waitcnt vmcnt(0)
	v_cmp_neq_f64_e64 s9, 0, v[43:44]
	v_cmp_neq_f64_e64 s10, 0, v[45:46]
	s_or_b32 vcc_lo, vcc_lo, s4
	v_dual_cndmask_b32 v9, v7, v9 :: v_dual_cndmask_b32 v8, v6, v8
	s_delay_alu instid0(VALU_DEP_1) | instskip(NEXT) | instid1(VALU_DEP_2)
	v_add_co_u32 v10, vcc_lo, v8, 1
	v_add_co_ci_u32_e32 v11, vcc_lo, 0, v9, vcc_lo
	s_or_b32 vcc_lo, s5, s6
	s_delay_alu instid0(VALU_DEP_1) | instskip(NEXT) | instid1(VALU_DEP_1)
	v_dual_cndmask_b32 v8, v8, v10 :: v_dual_cndmask_b32 v9, v9, v11
	v_add_co_u32 v10, vcc_lo, v8, 1
	s_delay_alu instid0(VALU_DEP_2) | instskip(SKIP_1) | instid1(VALU_DEP_1)
	v_add_co_ci_u32_e32 v11, vcc_lo, 0, v9, vcc_lo
	s_or_b32 vcc_lo, s7, s8
	v_dual_cndmask_b32 v14, v8, v10 :: v_dual_cndmask_b32 v13, v9, v11
	v_dual_mov_b32 v8, v0 :: v_dual_mov_b32 v9, v1
	v_dual_mov_b32 v10, v2 :: v_dual_mov_b32 v11, v3
	s_delay_alu instid0(VALU_DEP_3) | instskip(NEXT) | instid1(VALU_DEP_4)
	v_add_co_u32 v39, vcc_lo, v14, 1
	v_add_co_ci_u32_e32 v15, vcc_lo, 0, v13, vcc_lo
	s_or_b32 vcc_lo, s9, s10
	v_mov_b32_e32 v12, v4
	s_delay_alu instid0(VALU_DEP_3) | instskip(NEXT) | instid1(VALU_DEP_3)
	v_cndmask_b32_e32 v14, v14, v39, vcc_lo
	v_cndmask_b32_e32 v15, v13, v15, vcc_lo
	v_mov_b32_e32 v13, v5
	s_cbranch_execnz .LBB22_2
	s_branch .LBB22_26
.LBB22_25:                              ;   in Loop: Header=BB22_4 Depth=1
                                        ; implicit-def: $vgpr8_vgpr9_vgpr10_vgpr11_vgpr12_vgpr13_vgpr14_vgpr15
.LBB22_26:                              ;   in Loop: Header=BB22_4 Depth=1
	v_add_co_u32 v8, vcc_lo, s20, v37
	v_add_co_ci_u32_e32 v9, vcc_lo, s21, v38, vcc_lo
	v_add_co_u32 v12, vcc_lo, s20, v33
	v_add_co_ci_u32_e32 v13, vcc_lo, s21, v34, vcc_lo
	global_load_b128 v[8:11], v[8:9], off offset:3072
	v_add_co_u32 v39, vcc_lo, s20, v29
	global_load_b128 v[12:15], v[12:13], off offset:3072
	v_add_co_ci_u32_e32 v40, vcc_lo, s21, v30, vcc_lo
	v_add_co_u32 v43, vcc_lo, s20, v25
	v_add_co_ci_u32_e32 v44, vcc_lo, s21, v26, vcc_lo
	s_clause 0x1
	global_load_b128 v[39:42], v[39:40], off offset:3072
	global_load_b128 v[43:46], v[43:44], off offset:3072
	s_waitcnt vmcnt(3)
	v_cmp_neq_f64_e32 vcc_lo, 0, v[8:9]
	v_cmp_neq_f64_e64 s4, 0, v[10:11]
	v_add_co_u32 v8, s9, v6, 1
	s_waitcnt vmcnt(2)
	v_cmp_neq_f64_e64 s5, 0, v[12:13]
	v_cmp_neq_f64_e64 s6, 0, v[14:15]
	v_add_co_ci_u32_e64 v9, s9, 0, v7, s9
	s_waitcnt vmcnt(1)
	v_cmp_neq_f64_e64 s7, 0, v[39:40]
	v_cmp_neq_f64_e64 s8, 0, v[41:42]
	s_waitcnt vmcnt(0)
	v_cmp_neq_f64_e64 s9, 0, v[43:44]
	v_cmp_neq_f64_e64 s10, 0, v[45:46]
	s_or_b32 vcc_lo, vcc_lo, s4
	v_dual_cndmask_b32 v7, v7, v9 :: v_dual_cndmask_b32 v6, v6, v8
	s_delay_alu instid0(VALU_DEP_1) | instskip(NEXT) | instid1(VALU_DEP_2)
	v_add_co_u32 v8, vcc_lo, v6, 1
	v_add_co_ci_u32_e32 v9, vcc_lo, 0, v7, vcc_lo
	s_or_b32 vcc_lo, s5, s6
	s_delay_alu instid0(VALU_DEP_1) | instskip(NEXT) | instid1(VALU_DEP_1)
	v_dual_cndmask_b32 v6, v6, v8 :: v_dual_cndmask_b32 v7, v7, v9
	v_add_co_u32 v8, vcc_lo, v6, 1
	s_delay_alu instid0(VALU_DEP_2) | instskip(SKIP_1) | instid1(VALU_DEP_1)
	v_add_co_ci_u32_e32 v9, vcc_lo, 0, v7, vcc_lo
	s_or_b32 vcc_lo, s7, s8
	v_dual_cndmask_b32 v6, v6, v8 :: v_dual_cndmask_b32 v7, v7, v9
	s_delay_alu instid0(VALU_DEP_1) | instskip(NEXT) | instid1(VALU_DEP_2)
	v_add_co_u32 v8, vcc_lo, v6, 1
	v_add_co_ci_u32_e32 v9, vcc_lo, 0, v7, vcc_lo
	s_or_b32 vcc_lo, s9, s10
	s_delay_alu instid0(VALU_DEP_1) | instskip(NEXT) | instid1(VALU_DEP_1)
	v_dual_cndmask_b32 v6, v6, v8 :: v_dual_cndmask_b32 v7, v7, v9
	v_dual_mov_b32 v15, v7 :: v_dual_mov_b32 v14, v6
	v_dual_mov_b32 v13, v5 :: v_dual_mov_b32 v12, v4
	;; [unrolled: 1-line block ×4, first 2 shown]
	s_branch .LBB22_2
.LBB22_27:
	s_or_b32 exec_lo, exec_lo, s24
.LBB22_28:
	s_delay_alu instid0(SALU_CYCLE_1) | instskip(SKIP_1) | instid1(SALU_CYCLE_1)
	s_or_b32 exec_lo, exec_lo, s33
	s_sub_i32 s0, s18, s19
	s_cmp_lt_i32 s0, 1
	s_cbranch_scc1 .LBB22_126
; %bb.29:
	v_mov_b32_e32 v17, 0
	s_cmp_eq_u32 s16, 1
	v_ashrrev_i32_e32 v19, 31, v18
	s_cselect_b32 s2, -1, 0
	s_cmp_lg_u32 s16, 1
	v_lshlrev_b64 v[8:9], 4, v[16:17]
	s_cselect_b32 s1, -1, 0
	s_mov_b32 s3, exec_lo
	s_delay_alu instid0(VALU_DEP_1) | instskip(NEXT) | instid1(VALU_DEP_1)
	v_add_co_u32 v14, s0, s20, v8
	v_add_co_ci_u32_e64 v15, s0, s21, v9, s0
	v_cmpx_gt_i32_e64 s17, v18
	s_cbranch_execnz .LBB22_33
; %bb.30:
	s_or_b32 exec_lo, exec_lo, s3
	s_delay_alu instid0(SALU_CYCLE_1)
	s_mov_b32 s3, exec_lo
	v_cmpx_gt_i32_e64 s17, v24
	s_cbranch_execnz .LBB22_56
.LBB22_31:
	s_or_b32 exec_lo, exec_lo, s3
	s_delay_alu instid0(SALU_CYCLE_1)
	s_mov_b32 s3, exec_lo
	v_cmpx_gt_i32_e64 s17, v23
	s_cbranch_execnz .LBB22_79
.LBB22_32:
	s_or_b32 exec_lo, exec_lo, s3
	s_delay_alu instid0(SALU_CYCLE_1)
	s_mov_b32 s3, exec_lo
	v_cmpx_gt_i32_e64 s17, v22
	s_cbranch_execnz .LBB22_102
	s_branch .LBB22_125
.LBB22_33:
	v_mul_lo_u32 v10, v18, s23
	v_mul_lo_u32 v11, v19, s22
	v_mad_u64_u32 v[8:9], null, v18, s22, 0
	s_mov_b32 s4, exec_lo
	s_delay_alu instid0(VALU_DEP_1) | instskip(SKIP_1) | instid1(VALU_DEP_2)
	v_add3_u32 v9, v9, v10, v11
	v_lshlrev_b64 v[10:11], 4, v[18:19]
	v_lshlrev_b64 v[8:9], 4, v[8:9]
	s_delay_alu instid0(VALU_DEP_2) | instskip(NEXT) | instid1(VALU_DEP_3)
	v_add_co_u32 v17, vcc_lo, s20, v10
	v_add_co_ci_u32_e32 v25, vcc_lo, s21, v11, vcc_lo
	s_delay_alu instid0(VALU_DEP_3) | instskip(NEXT) | instid1(VALU_DEP_4)
	v_add_co_u32 v8, vcc_lo, v14, v8
	v_add_co_ci_u32_e32 v9, vcc_lo, v15, v9, vcc_lo
	v_cmpx_gt_i32_e64 s18, v16
	s_cbranch_execz .LBB22_37
; %bb.34:
	s_delay_alu instid0(VALU_DEP_2)
	v_dual_mov_b32 v11, v9 :: v_dual_mov_b32 v10, v8
	s_and_not1_b32 vcc_lo, exec_lo, s2
	s_cbranch_vccnz .LBB22_36
; %bb.35:
	v_mad_u64_u32 v[10:11], null, v16, s22, 0
	s_delay_alu instid0(VALU_DEP_1) | instskip(NEXT) | instid1(VALU_DEP_1)
	v_mad_u64_u32 v[12:13], null, v16, s23, v[11:12]
	v_mov_b32_e32 v11, v12
	s_delay_alu instid0(VALU_DEP_1) | instskip(NEXT) | instid1(VALU_DEP_1)
	v_lshlrev_b64 v[10:11], 4, v[10:11]
	v_add_co_u32 v10, vcc_lo, v17, v10
	s_delay_alu instid0(VALU_DEP_2)
	v_add_co_ci_u32_e32 v11, vcc_lo, v25, v11, vcc_lo
.LBB22_36:
	global_load_b128 v[10:13], v[10:11], off
	s_waitcnt vmcnt(0)
	v_cmp_neq_f64_e32 vcc_lo, 0, v[10:11]
	v_cmp_neq_f64_e64 s0, 0, v[12:13]
	s_delay_alu instid0(VALU_DEP_1) | instskip(NEXT) | instid1(SALU_CYCLE_1)
	s_or_b32 s0, vcc_lo, s0
	v_cndmask_b32_e64 v10, 0, 1, s0
	s_delay_alu instid0(VALU_DEP_1)
	v_add_co_u32 v0, vcc_lo, v0, v10
	v_add_co_ci_u32_e32 v1, vcc_lo, 0, v1, vcc_lo
.LBB22_37:
	s_or_b32 exec_lo, exec_lo, s4
	v_or_b32_e32 v26, 1, v16
	s_mov_b32 s4, exec_lo
	s_delay_alu instid0(VALU_DEP_1)
	v_cmpx_gt_i32_e64 s18, v26
	s_cbranch_execz .LBB22_43
; %bb.38:
	s_and_not1_b32 vcc_lo, exec_lo, s1
	s_cbranch_vccnz .LBB22_40
; %bb.39:
	v_add_co_u32 v10, vcc_lo, v8, 16
	v_add_co_ci_u32_e32 v11, vcc_lo, 0, v9, vcc_lo
	v_add_co_u32 v12, vcc_lo, v8, 24
	v_add_co_ci_u32_e32 v13, vcc_lo, 0, v9, vcc_lo
	s_cbranch_execz .LBB22_41
	s_branch .LBB22_42
.LBB22_40:
                                        ; implicit-def: $vgpr10_vgpr11
                                        ; implicit-def: $vgpr12_vgpr13
.LBB22_41:
	v_mad_u64_u32 v[10:11], null, v26, s22, 0
	s_delay_alu instid0(VALU_DEP_1) | instskip(NEXT) | instid1(VALU_DEP_1)
	v_mad_u64_u32 v[12:13], null, v26, s23, v[11:12]
	v_mov_b32_e32 v11, v12
	s_delay_alu instid0(VALU_DEP_1) | instskip(NEXT) | instid1(VALU_DEP_1)
	v_lshlrev_b64 v[10:11], 4, v[10:11]
	v_add_co_u32 v10, vcc_lo, v17, v10
	s_delay_alu instid0(VALU_DEP_2) | instskip(NEXT) | instid1(VALU_DEP_2)
	v_add_co_ci_u32_e32 v11, vcc_lo, v25, v11, vcc_lo
	v_add_co_u32 v12, vcc_lo, v10, 8
	s_delay_alu instid0(VALU_DEP_2)
	v_add_co_ci_u32_e32 v13, vcc_lo, 0, v11, vcc_lo
.LBB22_42:
	global_load_b64 v[10:11], v[10:11], off
	global_load_b64 v[12:13], v[12:13], off
	s_waitcnt vmcnt(1)
	v_cmp_neq_f64_e32 vcc_lo, 0, v[10:11]
	s_waitcnt vmcnt(0)
	v_cmp_neq_f64_e64 s0, 0, v[12:13]
	s_delay_alu instid0(VALU_DEP_1) | instskip(NEXT) | instid1(SALU_CYCLE_1)
	s_or_b32 s0, vcc_lo, s0
	v_cndmask_b32_e64 v10, 0, 1, s0
	s_delay_alu instid0(VALU_DEP_1)
	v_add_co_u32 v0, vcc_lo, v0, v10
	v_add_co_ci_u32_e32 v1, vcc_lo, 0, v1, vcc_lo
.LBB22_43:
	s_or_b32 exec_lo, exec_lo, s4
	v_or_b32_e32 v26, 2, v16
	s_mov_b32 s4, exec_lo
	s_delay_alu instid0(VALU_DEP_1)
	v_cmpx_gt_i32_e64 s18, v26
	s_cbranch_execz .LBB22_49
; %bb.44:
	s_and_not1_b32 vcc_lo, exec_lo, s1
	s_cbranch_vccnz .LBB22_46
; %bb.45:
	v_add_co_u32 v10, vcc_lo, v8, 32
	v_add_co_ci_u32_e32 v11, vcc_lo, 0, v9, vcc_lo
	v_add_co_u32 v12, vcc_lo, v8, 40
	v_add_co_ci_u32_e32 v13, vcc_lo, 0, v9, vcc_lo
	s_cbranch_execz .LBB22_47
	s_branch .LBB22_48
.LBB22_46:
                                        ; implicit-def: $vgpr10_vgpr11
                                        ; implicit-def: $vgpr12_vgpr13
.LBB22_47:
	v_mad_u64_u32 v[10:11], null, v26, s22, 0
	s_delay_alu instid0(VALU_DEP_1) | instskip(NEXT) | instid1(VALU_DEP_1)
	v_mad_u64_u32 v[12:13], null, v26, s23, v[11:12]
	v_mov_b32_e32 v11, v12
	s_delay_alu instid0(VALU_DEP_1) | instskip(NEXT) | instid1(VALU_DEP_1)
	v_lshlrev_b64 v[10:11], 4, v[10:11]
	v_add_co_u32 v10, vcc_lo, v17, v10
	s_delay_alu instid0(VALU_DEP_2) | instskip(NEXT) | instid1(VALU_DEP_2)
	v_add_co_ci_u32_e32 v11, vcc_lo, v25, v11, vcc_lo
	v_add_co_u32 v12, vcc_lo, v10, 8
	s_delay_alu instid0(VALU_DEP_2)
	v_add_co_ci_u32_e32 v13, vcc_lo, 0, v11, vcc_lo
.LBB22_48:
	global_load_b64 v[10:11], v[10:11], off
	global_load_b64 v[12:13], v[12:13], off
	s_waitcnt vmcnt(1)
	v_cmp_neq_f64_e32 vcc_lo, 0, v[10:11]
	s_waitcnt vmcnt(0)
	v_cmp_neq_f64_e64 s0, 0, v[12:13]
	s_delay_alu instid0(VALU_DEP_1) | instskip(NEXT) | instid1(SALU_CYCLE_1)
	s_or_b32 s0, vcc_lo, s0
	v_cndmask_b32_e64 v10, 0, 1, s0
	s_delay_alu instid0(VALU_DEP_1)
	v_add_co_u32 v0, vcc_lo, v0, v10
	v_add_co_ci_u32_e32 v1, vcc_lo, 0, v1, vcc_lo
.LBB22_49:
	s_or_b32 exec_lo, exec_lo, s4
	v_or_b32_e32 v12, 3, v16
	s_mov_b32 s4, exec_lo
	s_delay_alu instid0(VALU_DEP_1)
	v_cmpx_gt_i32_e64 s18, v12
	s_cbranch_execz .LBB22_55
; %bb.50:
	s_and_not1_b32 vcc_lo, exec_lo, s1
	s_cbranch_vccnz .LBB22_52
; %bb.51:
	v_add_co_u32 v10, vcc_lo, v8, 48
	v_add_co_ci_u32_e32 v11, vcc_lo, 0, v9, vcc_lo
	v_add_co_u32 v8, vcc_lo, v8, 56
	v_add_co_ci_u32_e32 v9, vcc_lo, 0, v9, vcc_lo
	s_cbranch_execz .LBB22_53
	s_branch .LBB22_54
.LBB22_52:
                                        ; implicit-def: $vgpr10_vgpr11
                                        ; implicit-def: $vgpr8_vgpr9
.LBB22_53:
	v_mad_u64_u32 v[8:9], null, v12, s22, 0
	s_delay_alu instid0(VALU_DEP_1) | instskip(NEXT) | instid1(VALU_DEP_1)
	v_mad_u64_u32 v[10:11], null, v12, s23, v[9:10]
	v_mov_b32_e32 v9, v10
	s_delay_alu instid0(VALU_DEP_1) | instskip(NEXT) | instid1(VALU_DEP_1)
	v_lshlrev_b64 v[8:9], 4, v[8:9]
	v_add_co_u32 v10, vcc_lo, v17, v8
	s_delay_alu instid0(VALU_DEP_2) | instskip(NEXT) | instid1(VALU_DEP_2)
	v_add_co_ci_u32_e32 v11, vcc_lo, v25, v9, vcc_lo
	v_add_co_u32 v8, vcc_lo, v10, 8
	s_delay_alu instid0(VALU_DEP_2)
	v_add_co_ci_u32_e32 v9, vcc_lo, 0, v11, vcc_lo
.LBB22_54:
	global_load_b64 v[10:11], v[10:11], off
	global_load_b64 v[8:9], v[8:9], off
	s_waitcnt vmcnt(1)
	v_cmp_neq_f64_e32 vcc_lo, 0, v[10:11]
	s_waitcnt vmcnt(0)
	v_cmp_neq_f64_e64 s0, 0, v[8:9]
	s_delay_alu instid0(VALU_DEP_1) | instskip(NEXT) | instid1(SALU_CYCLE_1)
	s_or_b32 s0, vcc_lo, s0
	v_cndmask_b32_e64 v8, 0, 1, s0
	s_delay_alu instid0(VALU_DEP_1)
	v_add_co_u32 v0, vcc_lo, v0, v8
	v_add_co_ci_u32_e32 v1, vcc_lo, 0, v1, vcc_lo
.LBB22_55:
	s_or_b32 exec_lo, exec_lo, s4
	s_delay_alu instid0(SALU_CYCLE_1) | instskip(NEXT) | instid1(SALU_CYCLE_1)
	s_or_b32 exec_lo, exec_lo, s3
	s_mov_b32 s3, exec_lo
	v_cmpx_gt_i32_e64 s17, v24
	s_cbranch_execz .LBB22_31
.LBB22_56:
	v_ashrrev_i32_e32 v10, 31, v24
	v_mul_lo_u32 v11, v24, s23
	v_mad_u64_u32 v[8:9], null, v24, s22, 0
	s_mov_b32 s4, exec_lo
	s_delay_alu instid0(VALU_DEP_3) | instskip(NEXT) | instid1(VALU_DEP_1)
	v_mul_lo_u32 v10, v10, s22
	v_add3_u32 v9, v9, v11, v10
	v_lshlrev_b64 v[10:11], 4, v[18:19]
	s_delay_alu instid0(VALU_DEP_2) | instskip(NEXT) | instid1(VALU_DEP_2)
	v_lshlrev_b64 v[8:9], 4, v[8:9]
	v_add_co_u32 v17, vcc_lo, s20, v10
	s_delay_alu instid0(VALU_DEP_3) | instskip(NEXT) | instid1(VALU_DEP_3)
	v_add_co_ci_u32_e32 v24, vcc_lo, s21, v11, vcc_lo
	v_add_co_u32 v8, vcc_lo, v14, v8
	s_delay_alu instid0(VALU_DEP_4)
	v_add_co_ci_u32_e32 v9, vcc_lo, v15, v9, vcc_lo
	v_cmpx_gt_i32_e64 s18, v16
	s_cbranch_execz .LBB22_60
; %bb.57:
	s_delay_alu instid0(VALU_DEP_2)
	v_dual_mov_b32 v11, v9 :: v_dual_mov_b32 v10, v8
	s_and_not1_b32 vcc_lo, exec_lo, s2
	s_cbranch_vccnz .LBB22_59
; %bb.58:
	v_mad_u64_u32 v[10:11], null, v16, s22, 0
	s_delay_alu instid0(VALU_DEP_1) | instskip(NEXT) | instid1(VALU_DEP_1)
	v_mad_u64_u32 v[12:13], null, v16, s23, v[11:12]
	v_mov_b32_e32 v11, v12
	s_delay_alu instid0(VALU_DEP_1) | instskip(NEXT) | instid1(VALU_DEP_1)
	v_lshlrev_b64 v[10:11], 4, v[10:11]
	v_add_co_u32 v10, vcc_lo, v17, v10
	s_delay_alu instid0(VALU_DEP_2) | instskip(NEXT) | instid1(VALU_DEP_2)
	v_add_co_ci_u32_e32 v11, vcc_lo, v24, v11, vcc_lo
	v_add_co_u32 v10, vcc_lo, 0x400, v10
	s_delay_alu instid0(VALU_DEP_2)
	v_add_co_ci_u32_e32 v11, vcc_lo, 0, v11, vcc_lo
.LBB22_59:
	global_load_b128 v[10:13], v[10:11], off
	s_waitcnt vmcnt(0)
	v_cmp_neq_f64_e32 vcc_lo, 0, v[10:11]
	v_cmp_neq_f64_e64 s0, 0, v[12:13]
	s_delay_alu instid0(VALU_DEP_1) | instskip(NEXT) | instid1(SALU_CYCLE_1)
	s_or_b32 s0, vcc_lo, s0
	v_cndmask_b32_e64 v10, 0, 1, s0
	s_delay_alu instid0(VALU_DEP_1)
	v_add_co_u32 v2, vcc_lo, v2, v10
	v_add_co_ci_u32_e32 v3, vcc_lo, 0, v3, vcc_lo
.LBB22_60:
	s_or_b32 exec_lo, exec_lo, s4
	v_or_b32_e32 v25, 1, v16
	s_mov_b32 s4, exec_lo
	s_delay_alu instid0(VALU_DEP_1)
	v_cmpx_gt_i32_e64 s18, v25
	s_cbranch_execz .LBB22_66
; %bb.61:
	s_and_not1_b32 vcc_lo, exec_lo, s1
	s_cbranch_vccnz .LBB22_63
; %bb.62:
	v_add_co_u32 v10, vcc_lo, v8, 16
	v_add_co_ci_u32_e32 v11, vcc_lo, 0, v9, vcc_lo
	v_add_co_u32 v12, vcc_lo, v8, 24
	v_add_co_ci_u32_e32 v13, vcc_lo, 0, v9, vcc_lo
	s_cbranch_execz .LBB22_64
	s_branch .LBB22_65
.LBB22_63:
                                        ; implicit-def: $vgpr10_vgpr11
                                        ; implicit-def: $vgpr12_vgpr13
.LBB22_64:
	v_mad_u64_u32 v[10:11], null, v25, s22, 0
	s_delay_alu instid0(VALU_DEP_1) | instskip(NEXT) | instid1(VALU_DEP_1)
	v_mad_u64_u32 v[12:13], null, v25, s23, v[11:12]
	v_mov_b32_e32 v11, v12
	s_delay_alu instid0(VALU_DEP_1) | instskip(NEXT) | instid1(VALU_DEP_1)
	v_lshlrev_b64 v[10:11], 4, v[10:11]
	v_add_co_u32 v12, vcc_lo, v17, v10
	s_delay_alu instid0(VALU_DEP_2) | instskip(NEXT) | instid1(VALU_DEP_2)
	v_add_co_ci_u32_e32 v13, vcc_lo, v24, v11, vcc_lo
	v_add_co_u32 v10, vcc_lo, 0x400, v12
	s_delay_alu instid0(VALU_DEP_2)
	v_add_co_ci_u32_e32 v11, vcc_lo, 0, v13, vcc_lo
	v_add_co_u32 v12, vcc_lo, 0x408, v12
	v_add_co_ci_u32_e32 v13, vcc_lo, 0, v13, vcc_lo
.LBB22_65:
	global_load_b64 v[10:11], v[10:11], off
	global_load_b64 v[12:13], v[12:13], off
	s_waitcnt vmcnt(1)
	v_cmp_neq_f64_e32 vcc_lo, 0, v[10:11]
	s_waitcnt vmcnt(0)
	v_cmp_neq_f64_e64 s0, 0, v[12:13]
	s_delay_alu instid0(VALU_DEP_1) | instskip(NEXT) | instid1(SALU_CYCLE_1)
	s_or_b32 s0, vcc_lo, s0
	v_cndmask_b32_e64 v10, 0, 1, s0
	s_delay_alu instid0(VALU_DEP_1)
	v_add_co_u32 v2, vcc_lo, v2, v10
	v_add_co_ci_u32_e32 v3, vcc_lo, 0, v3, vcc_lo
.LBB22_66:
	s_or_b32 exec_lo, exec_lo, s4
	v_or_b32_e32 v25, 2, v16
	s_mov_b32 s4, exec_lo
	s_delay_alu instid0(VALU_DEP_1)
	v_cmpx_gt_i32_e64 s18, v25
	s_cbranch_execz .LBB22_72
; %bb.67:
	s_and_not1_b32 vcc_lo, exec_lo, s1
	s_cbranch_vccnz .LBB22_69
; %bb.68:
	v_add_co_u32 v10, vcc_lo, v8, 32
	v_add_co_ci_u32_e32 v11, vcc_lo, 0, v9, vcc_lo
	v_add_co_u32 v12, vcc_lo, v8, 40
	v_add_co_ci_u32_e32 v13, vcc_lo, 0, v9, vcc_lo
	s_cbranch_execz .LBB22_70
	s_branch .LBB22_71
.LBB22_69:
                                        ; implicit-def: $vgpr10_vgpr11
                                        ; implicit-def: $vgpr12_vgpr13
.LBB22_70:
	v_mad_u64_u32 v[10:11], null, v25, s22, 0
	s_delay_alu instid0(VALU_DEP_1) | instskip(NEXT) | instid1(VALU_DEP_1)
	v_mad_u64_u32 v[12:13], null, v25, s23, v[11:12]
	v_mov_b32_e32 v11, v12
	s_delay_alu instid0(VALU_DEP_1) | instskip(NEXT) | instid1(VALU_DEP_1)
	v_lshlrev_b64 v[10:11], 4, v[10:11]
	v_add_co_u32 v12, vcc_lo, v17, v10
	s_delay_alu instid0(VALU_DEP_2) | instskip(NEXT) | instid1(VALU_DEP_2)
	v_add_co_ci_u32_e32 v13, vcc_lo, v24, v11, vcc_lo
	v_add_co_u32 v10, vcc_lo, 0x400, v12
	s_delay_alu instid0(VALU_DEP_2)
	v_add_co_ci_u32_e32 v11, vcc_lo, 0, v13, vcc_lo
	v_add_co_u32 v12, vcc_lo, 0x408, v12
	v_add_co_ci_u32_e32 v13, vcc_lo, 0, v13, vcc_lo
.LBB22_71:
	global_load_b64 v[10:11], v[10:11], off
	global_load_b64 v[12:13], v[12:13], off
	s_waitcnt vmcnt(1)
	v_cmp_neq_f64_e32 vcc_lo, 0, v[10:11]
	s_waitcnt vmcnt(0)
	v_cmp_neq_f64_e64 s0, 0, v[12:13]
	s_delay_alu instid0(VALU_DEP_1) | instskip(NEXT) | instid1(SALU_CYCLE_1)
	s_or_b32 s0, vcc_lo, s0
	v_cndmask_b32_e64 v10, 0, 1, s0
	s_delay_alu instid0(VALU_DEP_1)
	v_add_co_u32 v2, vcc_lo, v2, v10
	v_add_co_ci_u32_e32 v3, vcc_lo, 0, v3, vcc_lo
.LBB22_72:
	s_or_b32 exec_lo, exec_lo, s4
	v_or_b32_e32 v12, 3, v16
	s_mov_b32 s4, exec_lo
	s_delay_alu instid0(VALU_DEP_1)
	v_cmpx_gt_i32_e64 s18, v12
	s_cbranch_execz .LBB22_78
; %bb.73:
	s_and_not1_b32 vcc_lo, exec_lo, s1
	s_cbranch_vccnz .LBB22_75
; %bb.74:
	v_add_co_u32 v10, vcc_lo, v8, 48
	v_add_co_ci_u32_e32 v11, vcc_lo, 0, v9, vcc_lo
	v_add_co_u32 v8, vcc_lo, v8, 56
	v_add_co_ci_u32_e32 v9, vcc_lo, 0, v9, vcc_lo
	s_cbranch_execz .LBB22_76
	s_branch .LBB22_77
.LBB22_75:
                                        ; implicit-def: $vgpr10_vgpr11
                                        ; implicit-def: $vgpr8_vgpr9
.LBB22_76:
	v_mad_u64_u32 v[8:9], null, v12, s22, 0
	s_delay_alu instid0(VALU_DEP_1) | instskip(NEXT) | instid1(VALU_DEP_1)
	v_mad_u64_u32 v[10:11], null, v12, s23, v[9:10]
	v_mov_b32_e32 v9, v10
	s_delay_alu instid0(VALU_DEP_1) | instskip(NEXT) | instid1(VALU_DEP_1)
	v_lshlrev_b64 v[8:9], 4, v[8:9]
	v_add_co_u32 v8, vcc_lo, v17, v8
	s_delay_alu instid0(VALU_DEP_2) | instskip(NEXT) | instid1(VALU_DEP_2)
	v_add_co_ci_u32_e32 v9, vcc_lo, v24, v9, vcc_lo
	v_add_co_u32 v10, vcc_lo, 0x400, v8
	s_delay_alu instid0(VALU_DEP_2)
	v_add_co_ci_u32_e32 v11, vcc_lo, 0, v9, vcc_lo
	v_add_co_u32 v8, vcc_lo, 0x408, v8
	v_add_co_ci_u32_e32 v9, vcc_lo, 0, v9, vcc_lo
.LBB22_77:
	global_load_b64 v[10:11], v[10:11], off
	global_load_b64 v[8:9], v[8:9], off
	s_waitcnt vmcnt(1)
	v_cmp_neq_f64_e32 vcc_lo, 0, v[10:11]
	s_waitcnt vmcnt(0)
	v_cmp_neq_f64_e64 s0, 0, v[8:9]
	s_delay_alu instid0(VALU_DEP_1) | instskip(NEXT) | instid1(SALU_CYCLE_1)
	s_or_b32 s0, vcc_lo, s0
	v_cndmask_b32_e64 v8, 0, 1, s0
	s_delay_alu instid0(VALU_DEP_1)
	v_add_co_u32 v2, vcc_lo, v2, v8
	v_add_co_ci_u32_e32 v3, vcc_lo, 0, v3, vcc_lo
.LBB22_78:
	s_or_b32 exec_lo, exec_lo, s4
	s_delay_alu instid0(SALU_CYCLE_1) | instskip(NEXT) | instid1(SALU_CYCLE_1)
	s_or_b32 exec_lo, exec_lo, s3
	s_mov_b32 s3, exec_lo
	v_cmpx_gt_i32_e64 s17, v23
	s_cbranch_execz .LBB22_32
.LBB22_79:
	v_ashrrev_i32_e32 v10, 31, v23
	v_mul_lo_u32 v11, v23, s23
	v_mad_u64_u32 v[8:9], null, v23, s22, 0
	s_mov_b32 s4, exec_lo
	s_delay_alu instid0(VALU_DEP_3) | instskip(NEXT) | instid1(VALU_DEP_1)
	v_mul_lo_u32 v10, v10, s22
	v_add3_u32 v9, v9, v11, v10
	v_lshlrev_b64 v[10:11], 4, v[18:19]
	s_delay_alu instid0(VALU_DEP_2) | instskip(NEXT) | instid1(VALU_DEP_2)
	v_lshlrev_b64 v[8:9], 4, v[8:9]
	v_add_co_u32 v17, vcc_lo, s20, v10
	s_delay_alu instid0(VALU_DEP_3) | instskip(NEXT) | instid1(VALU_DEP_3)
	v_add_co_ci_u32_e32 v23, vcc_lo, s21, v11, vcc_lo
	v_add_co_u32 v8, vcc_lo, v14, v8
	s_delay_alu instid0(VALU_DEP_4)
	v_add_co_ci_u32_e32 v9, vcc_lo, v15, v9, vcc_lo
	v_cmpx_gt_i32_e64 s18, v16
	s_cbranch_execz .LBB22_83
; %bb.80:
	s_delay_alu instid0(VALU_DEP_2)
	v_dual_mov_b32 v11, v9 :: v_dual_mov_b32 v10, v8
	s_and_not1_b32 vcc_lo, exec_lo, s2
	s_cbranch_vccnz .LBB22_82
; %bb.81:
	v_mad_u64_u32 v[10:11], null, v16, s22, 0
	s_delay_alu instid0(VALU_DEP_1) | instskip(NEXT) | instid1(VALU_DEP_1)
	v_mad_u64_u32 v[12:13], null, v16, s23, v[11:12]
	v_mov_b32_e32 v11, v12
	s_delay_alu instid0(VALU_DEP_1) | instskip(NEXT) | instid1(VALU_DEP_1)
	v_lshlrev_b64 v[10:11], 4, v[10:11]
	v_add_co_u32 v10, vcc_lo, v17, v10
	s_delay_alu instid0(VALU_DEP_2) | instskip(NEXT) | instid1(VALU_DEP_2)
	v_add_co_ci_u32_e32 v11, vcc_lo, v23, v11, vcc_lo
	v_add_co_u32 v10, vcc_lo, 0x800, v10
	s_delay_alu instid0(VALU_DEP_2)
	v_add_co_ci_u32_e32 v11, vcc_lo, 0, v11, vcc_lo
.LBB22_82:
	global_load_b128 v[10:13], v[10:11], off
	s_waitcnt vmcnt(0)
	v_cmp_neq_f64_e32 vcc_lo, 0, v[10:11]
	v_cmp_neq_f64_e64 s0, 0, v[12:13]
	s_delay_alu instid0(VALU_DEP_1) | instskip(NEXT) | instid1(SALU_CYCLE_1)
	s_or_b32 s0, vcc_lo, s0
	v_cndmask_b32_e64 v10, 0, 1, s0
	s_delay_alu instid0(VALU_DEP_1)
	v_add_co_u32 v4, vcc_lo, v4, v10
	v_add_co_ci_u32_e32 v5, vcc_lo, 0, v5, vcc_lo
.LBB22_83:
	s_or_b32 exec_lo, exec_lo, s4
	v_or_b32_e32 v24, 1, v16
	s_mov_b32 s4, exec_lo
	s_delay_alu instid0(VALU_DEP_1)
	v_cmpx_gt_i32_e64 s18, v24
	s_cbranch_execz .LBB22_89
; %bb.84:
	s_and_not1_b32 vcc_lo, exec_lo, s1
	s_cbranch_vccnz .LBB22_86
; %bb.85:
	v_add_co_u32 v10, vcc_lo, v8, 16
	v_add_co_ci_u32_e32 v11, vcc_lo, 0, v9, vcc_lo
	v_add_co_u32 v12, vcc_lo, v8, 24
	v_add_co_ci_u32_e32 v13, vcc_lo, 0, v9, vcc_lo
	s_cbranch_execz .LBB22_87
	s_branch .LBB22_88
.LBB22_86:
                                        ; implicit-def: $vgpr10_vgpr11
                                        ; implicit-def: $vgpr12_vgpr13
.LBB22_87:
	v_mad_u64_u32 v[10:11], null, v24, s22, 0
	s_delay_alu instid0(VALU_DEP_1) | instskip(NEXT) | instid1(VALU_DEP_1)
	v_mad_u64_u32 v[12:13], null, v24, s23, v[11:12]
	v_mov_b32_e32 v11, v12
	s_delay_alu instid0(VALU_DEP_1) | instskip(NEXT) | instid1(VALU_DEP_1)
	v_lshlrev_b64 v[10:11], 4, v[10:11]
	v_add_co_u32 v12, vcc_lo, v17, v10
	s_delay_alu instid0(VALU_DEP_2) | instskip(NEXT) | instid1(VALU_DEP_2)
	v_add_co_ci_u32_e32 v13, vcc_lo, v23, v11, vcc_lo
	v_add_co_u32 v10, vcc_lo, 0x800, v12
	s_delay_alu instid0(VALU_DEP_2)
	v_add_co_ci_u32_e32 v11, vcc_lo, 0, v13, vcc_lo
	v_add_co_u32 v12, vcc_lo, 0x808, v12
	v_add_co_ci_u32_e32 v13, vcc_lo, 0, v13, vcc_lo
.LBB22_88:
	global_load_b64 v[10:11], v[10:11], off
	global_load_b64 v[12:13], v[12:13], off
	s_waitcnt vmcnt(1)
	v_cmp_neq_f64_e32 vcc_lo, 0, v[10:11]
	s_waitcnt vmcnt(0)
	v_cmp_neq_f64_e64 s0, 0, v[12:13]
	s_delay_alu instid0(VALU_DEP_1) | instskip(NEXT) | instid1(SALU_CYCLE_1)
	s_or_b32 s0, vcc_lo, s0
	v_cndmask_b32_e64 v10, 0, 1, s0
	s_delay_alu instid0(VALU_DEP_1)
	v_add_co_u32 v4, vcc_lo, v4, v10
	v_add_co_ci_u32_e32 v5, vcc_lo, 0, v5, vcc_lo
.LBB22_89:
	s_or_b32 exec_lo, exec_lo, s4
	v_or_b32_e32 v24, 2, v16
	s_mov_b32 s4, exec_lo
	s_delay_alu instid0(VALU_DEP_1)
	v_cmpx_gt_i32_e64 s18, v24
	s_cbranch_execz .LBB22_95
; %bb.90:
	s_and_not1_b32 vcc_lo, exec_lo, s1
	s_cbranch_vccnz .LBB22_92
; %bb.91:
	v_add_co_u32 v10, vcc_lo, v8, 32
	v_add_co_ci_u32_e32 v11, vcc_lo, 0, v9, vcc_lo
	v_add_co_u32 v12, vcc_lo, v8, 40
	v_add_co_ci_u32_e32 v13, vcc_lo, 0, v9, vcc_lo
	s_cbranch_execz .LBB22_93
	s_branch .LBB22_94
.LBB22_92:
                                        ; implicit-def: $vgpr10_vgpr11
                                        ; implicit-def: $vgpr12_vgpr13
.LBB22_93:
	v_mad_u64_u32 v[10:11], null, v24, s22, 0
	s_delay_alu instid0(VALU_DEP_1) | instskip(NEXT) | instid1(VALU_DEP_1)
	v_mad_u64_u32 v[12:13], null, v24, s23, v[11:12]
	v_mov_b32_e32 v11, v12
	s_delay_alu instid0(VALU_DEP_1) | instskip(NEXT) | instid1(VALU_DEP_1)
	v_lshlrev_b64 v[10:11], 4, v[10:11]
	v_add_co_u32 v12, vcc_lo, v17, v10
	s_delay_alu instid0(VALU_DEP_2) | instskip(NEXT) | instid1(VALU_DEP_2)
	v_add_co_ci_u32_e32 v13, vcc_lo, v23, v11, vcc_lo
	v_add_co_u32 v10, vcc_lo, 0x800, v12
	s_delay_alu instid0(VALU_DEP_2)
	v_add_co_ci_u32_e32 v11, vcc_lo, 0, v13, vcc_lo
	v_add_co_u32 v12, vcc_lo, 0x808, v12
	v_add_co_ci_u32_e32 v13, vcc_lo, 0, v13, vcc_lo
.LBB22_94:
	global_load_b64 v[10:11], v[10:11], off
	global_load_b64 v[12:13], v[12:13], off
	s_waitcnt vmcnt(1)
	v_cmp_neq_f64_e32 vcc_lo, 0, v[10:11]
	s_waitcnt vmcnt(0)
	v_cmp_neq_f64_e64 s0, 0, v[12:13]
	s_delay_alu instid0(VALU_DEP_1) | instskip(NEXT) | instid1(SALU_CYCLE_1)
	s_or_b32 s0, vcc_lo, s0
	v_cndmask_b32_e64 v10, 0, 1, s0
	s_delay_alu instid0(VALU_DEP_1)
	v_add_co_u32 v4, vcc_lo, v4, v10
	v_add_co_ci_u32_e32 v5, vcc_lo, 0, v5, vcc_lo
.LBB22_95:
	s_or_b32 exec_lo, exec_lo, s4
	v_or_b32_e32 v12, 3, v16
	s_mov_b32 s4, exec_lo
	s_delay_alu instid0(VALU_DEP_1)
	v_cmpx_gt_i32_e64 s18, v12
	s_cbranch_execz .LBB22_101
; %bb.96:
	s_and_not1_b32 vcc_lo, exec_lo, s1
	s_cbranch_vccnz .LBB22_98
; %bb.97:
	v_add_co_u32 v10, vcc_lo, v8, 48
	v_add_co_ci_u32_e32 v11, vcc_lo, 0, v9, vcc_lo
	v_add_co_u32 v8, vcc_lo, v8, 56
	v_add_co_ci_u32_e32 v9, vcc_lo, 0, v9, vcc_lo
	s_cbranch_execz .LBB22_99
	s_branch .LBB22_100
.LBB22_98:
                                        ; implicit-def: $vgpr10_vgpr11
                                        ; implicit-def: $vgpr8_vgpr9
.LBB22_99:
	v_mad_u64_u32 v[8:9], null, v12, s22, 0
	s_delay_alu instid0(VALU_DEP_1) | instskip(NEXT) | instid1(VALU_DEP_1)
	v_mad_u64_u32 v[10:11], null, v12, s23, v[9:10]
	v_mov_b32_e32 v9, v10
	s_delay_alu instid0(VALU_DEP_1) | instskip(NEXT) | instid1(VALU_DEP_1)
	v_lshlrev_b64 v[8:9], 4, v[8:9]
	v_add_co_u32 v8, vcc_lo, v17, v8
	s_delay_alu instid0(VALU_DEP_2) | instskip(NEXT) | instid1(VALU_DEP_2)
	v_add_co_ci_u32_e32 v9, vcc_lo, v23, v9, vcc_lo
	v_add_co_u32 v10, vcc_lo, 0x800, v8
	s_delay_alu instid0(VALU_DEP_2)
	v_add_co_ci_u32_e32 v11, vcc_lo, 0, v9, vcc_lo
	v_add_co_u32 v8, vcc_lo, 0x808, v8
	v_add_co_ci_u32_e32 v9, vcc_lo, 0, v9, vcc_lo
.LBB22_100:
	global_load_b64 v[10:11], v[10:11], off
	global_load_b64 v[8:9], v[8:9], off
	s_waitcnt vmcnt(1)
	v_cmp_neq_f64_e32 vcc_lo, 0, v[10:11]
	s_waitcnt vmcnt(0)
	v_cmp_neq_f64_e64 s0, 0, v[8:9]
	s_delay_alu instid0(VALU_DEP_1) | instskip(NEXT) | instid1(SALU_CYCLE_1)
	s_or_b32 s0, vcc_lo, s0
	v_cndmask_b32_e64 v8, 0, 1, s0
	s_delay_alu instid0(VALU_DEP_1)
	v_add_co_u32 v4, vcc_lo, v4, v8
	v_add_co_ci_u32_e32 v5, vcc_lo, 0, v5, vcc_lo
.LBB22_101:
	s_or_b32 exec_lo, exec_lo, s4
	s_delay_alu instid0(SALU_CYCLE_1) | instskip(NEXT) | instid1(SALU_CYCLE_1)
	s_or_b32 exec_lo, exec_lo, s3
	s_mov_b32 s3, exec_lo
	v_cmpx_gt_i32_e64 s17, v22
	s_cbranch_execz .LBB22_125
.LBB22_102:
	v_ashrrev_i32_e32 v10, 31, v22
	v_mul_lo_u32 v11, v22, s23
	v_mad_u64_u32 v[8:9], null, v22, s22, 0
	s_mov_b32 s4, exec_lo
	s_delay_alu instid0(VALU_DEP_3) | instskip(NEXT) | instid1(VALU_DEP_1)
	v_mul_lo_u32 v10, v10, s22
	v_add3_u32 v9, v9, v11, v10
	v_lshlrev_b64 v[10:11], 4, v[18:19]
	s_delay_alu instid0(VALU_DEP_2) | instskip(NEXT) | instid1(VALU_DEP_2)
	v_lshlrev_b64 v[8:9], 4, v[8:9]
	v_add_co_u32 v17, vcc_lo, s20, v10
	s_delay_alu instid0(VALU_DEP_3) | instskip(NEXT) | instid1(VALU_DEP_3)
	v_add_co_ci_u32_e32 v18, vcc_lo, s21, v11, vcc_lo
	v_add_co_u32 v8, vcc_lo, v14, v8
	s_delay_alu instid0(VALU_DEP_4)
	v_add_co_ci_u32_e32 v9, vcc_lo, v15, v9, vcc_lo
	v_cmpx_gt_i32_e64 s18, v16
	s_cbranch_execz .LBB22_106
; %bb.103:
	s_delay_alu instid0(VALU_DEP_2)
	v_dual_mov_b32 v11, v9 :: v_dual_mov_b32 v10, v8
	s_and_not1_b32 vcc_lo, exec_lo, s2
	s_cbranch_vccnz .LBB22_105
; %bb.104:
	v_mad_u64_u32 v[10:11], null, v16, s22, 0
	s_delay_alu instid0(VALU_DEP_1) | instskip(NEXT) | instid1(VALU_DEP_1)
	v_mad_u64_u32 v[12:13], null, v16, s23, v[11:12]
	v_mov_b32_e32 v11, v12
	s_delay_alu instid0(VALU_DEP_1) | instskip(NEXT) | instid1(VALU_DEP_1)
	v_lshlrev_b64 v[10:11], 4, v[10:11]
	v_add_co_u32 v10, vcc_lo, v17, v10
	s_delay_alu instid0(VALU_DEP_2) | instskip(NEXT) | instid1(VALU_DEP_2)
	v_add_co_ci_u32_e32 v11, vcc_lo, v18, v11, vcc_lo
	v_add_co_u32 v10, vcc_lo, 0xc00, v10
	s_delay_alu instid0(VALU_DEP_2)
	v_add_co_ci_u32_e32 v11, vcc_lo, 0, v11, vcc_lo
.LBB22_105:
	global_load_b128 v[10:13], v[10:11], off
	s_waitcnt vmcnt(0)
	v_cmp_neq_f64_e32 vcc_lo, 0, v[10:11]
	v_cmp_neq_f64_e64 s0, 0, v[12:13]
	s_delay_alu instid0(VALU_DEP_1) | instskip(NEXT) | instid1(SALU_CYCLE_1)
	s_or_b32 s0, vcc_lo, s0
	v_cndmask_b32_e64 v10, 0, 1, s0
	s_delay_alu instid0(VALU_DEP_1)
	v_add_co_u32 v6, vcc_lo, v6, v10
	v_add_co_ci_u32_e32 v7, vcc_lo, 0, v7, vcc_lo
.LBB22_106:
	s_or_b32 exec_lo, exec_lo, s4
	v_or_b32_e32 v15, 1, v16
	v_cndmask_b32_e64 v14, 0, 1, s1
	s_mov_b32 s2, exec_lo
	s_delay_alu instid0(VALU_DEP_2)
	v_cmpx_gt_i32_e64 s18, v15
	s_cbranch_execz .LBB22_112
; %bb.107:
	s_and_not1_b32 vcc_lo, exec_lo, s1
	s_cbranch_vccnz .LBB22_109
; %bb.108:
	v_add_co_u32 v10, vcc_lo, v8, 16
	v_add_co_ci_u32_e32 v11, vcc_lo, 0, v9, vcc_lo
	v_add_co_u32 v12, vcc_lo, v8, 24
	v_add_co_ci_u32_e32 v13, vcc_lo, 0, v9, vcc_lo
	s_cbranch_execz .LBB22_110
	s_branch .LBB22_111
.LBB22_109:
                                        ; implicit-def: $vgpr10_vgpr11
                                        ; implicit-def: $vgpr12_vgpr13
.LBB22_110:
	v_mad_u64_u32 v[10:11], null, v15, s22, 0
	s_delay_alu instid0(VALU_DEP_1) | instskip(NEXT) | instid1(VALU_DEP_1)
	v_mad_u64_u32 v[12:13], null, v15, s23, v[11:12]
	v_mov_b32_e32 v11, v12
	s_delay_alu instid0(VALU_DEP_1) | instskip(NEXT) | instid1(VALU_DEP_1)
	v_lshlrev_b64 v[10:11], 4, v[10:11]
	v_add_co_u32 v12, vcc_lo, v17, v10
	s_delay_alu instid0(VALU_DEP_2) | instskip(NEXT) | instid1(VALU_DEP_2)
	v_add_co_ci_u32_e32 v13, vcc_lo, v18, v11, vcc_lo
	v_add_co_u32 v10, vcc_lo, 0xc00, v12
	s_delay_alu instid0(VALU_DEP_2)
	v_add_co_ci_u32_e32 v11, vcc_lo, 0, v13, vcc_lo
	v_add_co_u32 v12, vcc_lo, 0xc08, v12
	v_add_co_ci_u32_e32 v13, vcc_lo, 0, v13, vcc_lo
.LBB22_111:
	global_load_b64 v[10:11], v[10:11], off
	global_load_b64 v[12:13], v[12:13], off
	s_waitcnt vmcnt(1)
	v_cmp_neq_f64_e32 vcc_lo, 0, v[10:11]
	s_waitcnt vmcnt(0)
	v_cmp_neq_f64_e64 s0, 0, v[12:13]
	s_delay_alu instid0(VALU_DEP_1) | instskip(NEXT) | instid1(SALU_CYCLE_1)
	s_or_b32 s0, vcc_lo, s0
	v_cndmask_b32_e64 v10, 0, 1, s0
	s_delay_alu instid0(VALU_DEP_1)
	v_add_co_u32 v6, vcc_lo, v6, v10
	v_add_co_ci_u32_e32 v7, vcc_lo, 0, v7, vcc_lo
.LBB22_112:
	s_or_b32 exec_lo, exec_lo, s2
	v_or_b32_e32 v15, 2, v16
	s_mov_b32 s1, exec_lo
	s_delay_alu instid0(VALU_DEP_1)
	v_cmpx_gt_i32_e64 s18, v15
	s_cbranch_execz .LBB22_118
; %bb.113:
	v_cmp_ne_u32_e32 vcc_lo, 1, v14
	s_cbranch_vccnz .LBB22_115
; %bb.114:
	v_add_co_u32 v10, vcc_lo, v8, 32
	v_add_co_ci_u32_e32 v11, vcc_lo, 0, v9, vcc_lo
	v_add_co_u32 v12, vcc_lo, v8, 40
	v_add_co_ci_u32_e32 v13, vcc_lo, 0, v9, vcc_lo
	s_cbranch_execz .LBB22_116
	s_branch .LBB22_117
.LBB22_115:
                                        ; implicit-def: $vgpr10_vgpr11
                                        ; implicit-def: $vgpr12_vgpr13
.LBB22_116:
	v_mad_u64_u32 v[10:11], null, v15, s22, 0
	s_delay_alu instid0(VALU_DEP_1) | instskip(NEXT) | instid1(VALU_DEP_1)
	v_mad_u64_u32 v[12:13], null, v15, s23, v[11:12]
	v_mov_b32_e32 v11, v12
	s_delay_alu instid0(VALU_DEP_1) | instskip(NEXT) | instid1(VALU_DEP_1)
	v_lshlrev_b64 v[10:11], 4, v[10:11]
	v_add_co_u32 v12, vcc_lo, v17, v10
	s_delay_alu instid0(VALU_DEP_2) | instskip(NEXT) | instid1(VALU_DEP_2)
	v_add_co_ci_u32_e32 v13, vcc_lo, v18, v11, vcc_lo
	v_add_co_u32 v10, vcc_lo, 0xc00, v12
	s_delay_alu instid0(VALU_DEP_2)
	v_add_co_ci_u32_e32 v11, vcc_lo, 0, v13, vcc_lo
	v_add_co_u32 v12, vcc_lo, 0xc08, v12
	v_add_co_ci_u32_e32 v13, vcc_lo, 0, v13, vcc_lo
.LBB22_117:
	global_load_b64 v[10:11], v[10:11], off
	global_load_b64 v[12:13], v[12:13], off
	s_waitcnt vmcnt(1)
	v_cmp_neq_f64_e32 vcc_lo, 0, v[10:11]
	s_waitcnt vmcnt(0)
	v_cmp_neq_f64_e64 s0, 0, v[12:13]
	s_delay_alu instid0(VALU_DEP_1) | instskip(NEXT) | instid1(SALU_CYCLE_1)
	s_or_b32 s0, vcc_lo, s0
	v_cndmask_b32_e64 v10, 0, 1, s0
	s_delay_alu instid0(VALU_DEP_1)
	v_add_co_u32 v6, vcc_lo, v6, v10
	v_add_co_ci_u32_e32 v7, vcc_lo, 0, v7, vcc_lo
.LBB22_118:
	s_or_b32 exec_lo, exec_lo, s1
	v_or_b32_e32 v12, 3, v16
	s_mov_b32 s1, exec_lo
	s_delay_alu instid0(VALU_DEP_1)
	v_cmpx_gt_i32_e64 s18, v12
	s_cbranch_execz .LBB22_124
; %bb.119:
	v_cmp_ne_u32_e32 vcc_lo, 1, v14
	s_cbranch_vccnz .LBB22_121
; %bb.120:
	v_add_co_u32 v10, vcc_lo, v8, 48
	v_add_co_ci_u32_e32 v11, vcc_lo, 0, v9, vcc_lo
	v_add_co_u32 v8, vcc_lo, v8, 56
	v_add_co_ci_u32_e32 v9, vcc_lo, 0, v9, vcc_lo
	s_cbranch_execz .LBB22_122
	s_branch .LBB22_123
.LBB22_121:
                                        ; implicit-def: $vgpr10_vgpr11
                                        ; implicit-def: $vgpr8_vgpr9
.LBB22_122:
	v_mad_u64_u32 v[8:9], null, v12, s22, 0
	s_delay_alu instid0(VALU_DEP_1) | instskip(NEXT) | instid1(VALU_DEP_1)
	v_mad_u64_u32 v[10:11], null, v12, s23, v[9:10]
	v_mov_b32_e32 v9, v10
	s_delay_alu instid0(VALU_DEP_1) | instskip(NEXT) | instid1(VALU_DEP_1)
	v_lshlrev_b64 v[8:9], 4, v[8:9]
	v_add_co_u32 v8, vcc_lo, v17, v8
	s_delay_alu instid0(VALU_DEP_2) | instskip(NEXT) | instid1(VALU_DEP_2)
	v_add_co_ci_u32_e32 v9, vcc_lo, v18, v9, vcc_lo
	v_add_co_u32 v10, vcc_lo, 0xc00, v8
	s_delay_alu instid0(VALU_DEP_2)
	v_add_co_ci_u32_e32 v11, vcc_lo, 0, v9, vcc_lo
	v_add_co_u32 v8, vcc_lo, 0xc08, v8
	v_add_co_ci_u32_e32 v9, vcc_lo, 0, v9, vcc_lo
.LBB22_123:
	global_load_b64 v[10:11], v[10:11], off
	global_load_b64 v[8:9], v[8:9], off
	s_waitcnt vmcnt(1)
	v_cmp_neq_f64_e32 vcc_lo, 0, v[10:11]
	s_waitcnt vmcnt(0)
	v_cmp_neq_f64_e64 s0, 0, v[8:9]
	s_delay_alu instid0(VALU_DEP_1) | instskip(NEXT) | instid1(SALU_CYCLE_1)
	s_or_b32 s0, vcc_lo, s0
	v_cndmask_b32_e64 v8, 0, 1, s0
	s_delay_alu instid0(VALU_DEP_1)
	v_add_co_u32 v6, vcc_lo, v6, v8
	v_add_co_ci_u32_e32 v7, vcc_lo, 0, v7, vcc_lo
.LBB22_124:
	s_or_b32 exec_lo, exec_lo, s1
.LBB22_125:
	s_delay_alu instid0(SALU_CYCLE_1)
	s_or_b32 exec_lo, exec_lo, s3
.LBB22_126:
	v_lshlrev_b32_e32 v8, 2, v20
	s_mov_b32 s0, exec_lo
	s_delay_alu instid0(VALU_DEP_1) | instskip(NEXT) | instid1(VALU_DEP_1)
	v_and_or_b32 v8, 0x1fffff00, v8, v21
	v_lshlrev_b32_e32 v8, 3, v8
	ds_store_2addr_stride64_b64 v8, v[0:1], v[2:3] offset1:1
	ds_store_2addr_stride64_b64 v8, v[4:5], v[6:7] offset0:2 offset1:3
	s_waitcnt lgkmcnt(0)
	s_barrier
	buffer_gl0_inv
	v_cmpx_gt_u32_e32 0x100, v20
	s_cbranch_execz .LBB22_129
; %bb.127:
	v_lshlrev_b32_e32 v12, 3, v20
	ds_load_2addr_stride64_b64 v[0:3], v12 offset1:4
	ds_load_2addr_stride64_b64 v[4:7], v12 offset0:8 offset1:12
	ds_load_2addr_stride64_b64 v[8:11], v12 offset0:16 offset1:20
	s_waitcnt lgkmcnt(2)
	v_add_co_u32 v13, vcc_lo, v0, v2
	v_add_co_ci_u32_e32 v14, vcc_lo, v1, v3, vcc_lo
	ds_load_2addr_stride64_b64 v[0:3], v12 offset0:24 offset1:28
	s_waitcnt lgkmcnt(2)
	v_add_co_u32 v4, vcc_lo, v13, v4
	v_add_co_ci_u32_e32 v5, vcc_lo, v14, v5, vcc_lo
	s_delay_alu instid0(VALU_DEP_2) | instskip(NEXT) | instid1(VALU_DEP_2)
	v_add_co_u32 v13, vcc_lo, v4, v6
	v_add_co_ci_u32_e32 v14, vcc_lo, v5, v7, vcc_lo
	ds_load_2addr_stride64_b64 v[4:7], v12 offset0:32 offset1:36
	s_waitcnt lgkmcnt(2)
	v_add_co_u32 v8, vcc_lo, v13, v8
	v_add_co_ci_u32_e32 v9, vcc_lo, v14, v9, vcc_lo
	s_delay_alu instid0(VALU_DEP_2) | instskip(NEXT) | instid1(VALU_DEP_2)
	v_add_co_u32 v13, vcc_lo, v8, v10
	v_add_co_ci_u32_e32 v14, vcc_lo, v9, v11, vcc_lo
	ds_load_2addr_stride64_b64 v[8:11], v12 offset0:40 offset1:44
	s_waitcnt lgkmcnt(2)
	v_add_co_u32 v0, vcc_lo, v13, v0
	v_add_co_ci_u32_e32 v1, vcc_lo, v14, v1, vcc_lo
	s_delay_alu instid0(VALU_DEP_2) | instskip(NEXT) | instid1(VALU_DEP_2)
	v_add_co_u32 v13, vcc_lo, v0, v2
	v_add_co_ci_u32_e32 v14, vcc_lo, v1, v3, vcc_lo
	ds_load_2addr_stride64_b64 v[0:3], v12 offset0:48 offset1:52
	s_waitcnt lgkmcnt(2)
	v_add_co_u32 v4, vcc_lo, v13, v4
	v_add_co_ci_u32_e32 v5, vcc_lo, v14, v5, vcc_lo
	s_delay_alu instid0(VALU_DEP_2) | instskip(NEXT) | instid1(VALU_DEP_2)
	v_add_co_u32 v13, vcc_lo, v4, v6
	v_add_co_ci_u32_e32 v14, vcc_lo, v5, v7, vcc_lo
	ds_load_2addr_stride64_b64 v[4:7], v12 offset0:56 offset1:60
	s_waitcnt lgkmcnt(2)
	v_add_co_u32 v8, vcc_lo, v13, v8
	v_add_co_ci_u32_e32 v9, vcc_lo, v14, v9, vcc_lo
	s_delay_alu instid0(VALU_DEP_2) | instskip(NEXT) | instid1(VALU_DEP_2)
	v_add_co_u32 v8, vcc_lo, v8, v10
	v_add_co_ci_u32_e32 v9, vcc_lo, v9, v11, vcc_lo
	s_waitcnt lgkmcnt(1)
	s_delay_alu instid0(VALU_DEP_2) | instskip(NEXT) | instid1(VALU_DEP_2)
	v_add_co_u32 v0, vcc_lo, v8, v0
	v_add_co_ci_u32_e32 v1, vcc_lo, v9, v1, vcc_lo
	s_delay_alu instid0(VALU_DEP_2) | instskip(NEXT) | instid1(VALU_DEP_2)
	v_add_co_u32 v0, vcc_lo, v0, v2
	v_add_co_ci_u32_e32 v1, vcc_lo, v1, v3, vcc_lo
	v_add_nc_u32_e32 v2, s11, v20
	s_waitcnt lgkmcnt(0)
	s_delay_alu instid0(VALU_DEP_3) | instskip(NEXT) | instid1(VALU_DEP_3)
	v_add_co_u32 v0, vcc_lo, v0, v4
	v_add_co_ci_u32_e32 v1, vcc_lo, v1, v5, vcc_lo
	s_delay_alu instid0(VALU_DEP_2) | instskip(NEXT) | instid1(VALU_DEP_2)
	v_add_co_u32 v0, vcc_lo, v0, v6
	v_add_co_ci_u32_e32 v1, vcc_lo, v1, v7, vcc_lo
	v_cmp_gt_i32_e32 vcc_lo, s17, v2
	ds_store_b64 v12, v[0:1]
	s_and_b32 exec_lo, exec_lo, vcc_lo
	s_cbranch_execz .LBB22_129
; %bb.128:
	v_ashrrev_i32_e32 v3, 31, v2
	s_delay_alu instid0(VALU_DEP_1) | instskip(NEXT) | instid1(VALU_DEP_1)
	v_lshlrev_b64 v[2:3], 3, v[2:3]
	v_add_co_u32 v2, vcc_lo, s12, v2
	s_delay_alu instid0(VALU_DEP_2)
	v_add_co_ci_u32_e32 v3, vcc_lo, s13, v3, vcc_lo
	global_store_b64 v[2:3], v[0:1], off
.LBB22_129:
	s_nop 0
	s_sendmsg sendmsg(MSG_DEALLOC_VGPRS)
	s_endpgm
	.section	.rodata,"a",@progbits
	.p2align	6, 0x0
	.amdhsa_kernel _ZN9rocsparseL14nnz_kernel_rowILi64ELi16Eli21rocsparse_complex_numIdEEEv16rocsparse_order_T2_S4_PKT3_lPT1_
		.amdhsa_group_segment_fixed_size 32768
		.amdhsa_private_segment_fixed_size 0
		.amdhsa_kernarg_size 296
		.amdhsa_user_sgpr_count 15
		.amdhsa_user_sgpr_dispatch_ptr 0
		.amdhsa_user_sgpr_queue_ptr 0
		.amdhsa_user_sgpr_kernarg_segment_ptr 1
		.amdhsa_user_sgpr_dispatch_id 0
		.amdhsa_user_sgpr_private_segment_size 0
		.amdhsa_wavefront_size32 1
		.amdhsa_uses_dynamic_stack 0
		.amdhsa_enable_private_segment 0
		.amdhsa_system_sgpr_workgroup_id_x 1
		.amdhsa_system_sgpr_workgroup_id_y 0
		.amdhsa_system_sgpr_workgroup_id_z 0
		.amdhsa_system_sgpr_workgroup_info 0
		.amdhsa_system_vgpr_workitem_id 1
		.amdhsa_next_free_vgpr 47
		.amdhsa_next_free_sgpr 34
		.amdhsa_reserve_vcc 1
		.amdhsa_float_round_mode_32 0
		.amdhsa_float_round_mode_16_64 0
		.amdhsa_float_denorm_mode_32 3
		.amdhsa_float_denorm_mode_16_64 3
		.amdhsa_dx10_clamp 1
		.amdhsa_ieee_mode 1
		.amdhsa_fp16_overflow 0
		.amdhsa_workgroup_processor_mode 1
		.amdhsa_memory_ordered 1
		.amdhsa_forward_progress 0
		.amdhsa_shared_vgpr_count 0
		.amdhsa_exception_fp_ieee_invalid_op 0
		.amdhsa_exception_fp_denorm_src 0
		.amdhsa_exception_fp_ieee_div_zero 0
		.amdhsa_exception_fp_ieee_overflow 0
		.amdhsa_exception_fp_ieee_underflow 0
		.amdhsa_exception_fp_ieee_inexact 0
		.amdhsa_exception_int_div_zero 0
	.end_amdhsa_kernel
	.section	.text._ZN9rocsparseL14nnz_kernel_rowILi64ELi16Eli21rocsparse_complex_numIdEEEv16rocsparse_order_T2_S4_PKT3_lPT1_,"axG",@progbits,_ZN9rocsparseL14nnz_kernel_rowILi64ELi16Eli21rocsparse_complex_numIdEEEv16rocsparse_order_T2_S4_PKT3_lPT1_,comdat
.Lfunc_end22:
	.size	_ZN9rocsparseL14nnz_kernel_rowILi64ELi16Eli21rocsparse_complex_numIdEEEv16rocsparse_order_T2_S4_PKT3_lPT1_, .Lfunc_end22-_ZN9rocsparseL14nnz_kernel_rowILi64ELi16Eli21rocsparse_complex_numIdEEEv16rocsparse_order_T2_S4_PKT3_lPT1_
                                        ; -- End function
	.section	.AMDGPU.csdata,"",@progbits
; Kernel info:
; codeLenInByte = 7932
; NumSgprs: 36
; NumVgprs: 47
; ScratchSize: 0
; MemoryBound: 0
; FloatMode: 240
; IeeeMode: 1
; LDSByteSize: 32768 bytes/workgroup (compile time only)
; SGPRBlocks: 4
; VGPRBlocks: 5
; NumSGPRsForWavesPerEU: 36
; NumVGPRsForWavesPerEU: 47
; Occupancy: 16
; WaveLimiterHint : 0
; COMPUTE_PGM_RSRC2:SCRATCH_EN: 0
; COMPUTE_PGM_RSRC2:USER_SGPR: 15
; COMPUTE_PGM_RSRC2:TRAP_HANDLER: 0
; COMPUTE_PGM_RSRC2:TGID_X_EN: 1
; COMPUTE_PGM_RSRC2:TGID_Y_EN: 0
; COMPUTE_PGM_RSRC2:TGID_Z_EN: 0
; COMPUTE_PGM_RSRC2:TIDIG_COMP_CNT: 1
	.section	.text._ZN9rocsparseL14nnz_kernel_colILi256Eli21rocsparse_complex_numIdEEEv16rocsparse_order_T1_S4_PKT2_lPT0_,"axG",@progbits,_ZN9rocsparseL14nnz_kernel_colILi256Eli21rocsparse_complex_numIdEEEv16rocsparse_order_T1_S4_PKT2_lPT0_,comdat
	.globl	_ZN9rocsparseL14nnz_kernel_colILi256Eli21rocsparse_complex_numIdEEEv16rocsparse_order_T1_S4_PKT2_lPT0_ ; -- Begin function _ZN9rocsparseL14nnz_kernel_colILi256Eli21rocsparse_complex_numIdEEEv16rocsparse_order_T1_S4_PKT2_lPT0_
	.p2align	8
	.type	_ZN9rocsparseL14nnz_kernel_colILi256Eli21rocsparse_complex_numIdEEEv16rocsparse_order_T1_S4_PKT2_lPT0_,@function
_ZN9rocsparseL14nnz_kernel_colILi256Eli21rocsparse_complex_numIdEEEv16rocsparse_order_T1_S4_PKT2_lPT0_: ; @_ZN9rocsparseL14nnz_kernel_colILi256Eli21rocsparse_complex_numIdEEEv16rocsparse_order_T1_S4_PKT2_lPT0_
; %bb.0:
	s_clause 0x1
	s_load_b64 s[10:11], s[0:1], 0x0
	s_load_b128 s[4:7], s[0:1], 0x10
	s_mov_b32 s8, s15
	s_waitcnt lgkmcnt(0)
	s_ashr_i32 s2, s11, 31
	s_delay_alu instid0(SALU_CYCLE_1) | instskip(NEXT) | instid1(SALU_CYCLE_1)
	s_lshr_b32 s2, s2, 24
	s_add_i32 s2, s11, s2
	s_delay_alu instid0(SALU_CYCLE_1)
	s_and_b32 s12, s2, 0xffffff00
	s_cmp_eq_u32 s10, 1
	s_cbranch_scc1 .LBB23_6
; %bb.1:
	v_mov_b32_e32 v1, 0
	v_mov_b32_e32 v2, 0
	s_cmpk_lt_i32 s11, 0x100
	s_cbranch_scc1 .LBB23_7
; %bb.2:
	v_mad_u64_u32 v[1:2], null, s6, v0, 0
	s_ashr_i32 s9, s8, 31
	s_delay_alu instid0(SALU_CYCLE_1) | instskip(NEXT) | instid1(SALU_CYCLE_1)
	s_lshl_b64 s[2:3], s[8:9], 4
	s_add_u32 s2, s4, s2
	s_addc_u32 s3, s5, s3
	s_delay_alu instid0(VALU_DEP_1) | instskip(SKIP_1) | instid1(VALU_DEP_1)
	v_mad_u64_u32 v[3:4], null, s7, v0, v[2:3]
	s_lshl_b64 s[14:15], s[6:7], 12
	v_mov_b32_e32 v2, v3
	s_delay_alu instid0(VALU_DEP_1) | instskip(NEXT) | instid1(VALU_DEP_1)
	v_lshlrev_b64 v[1:2], 4, v[1:2]
	v_add_co_u32 v3, vcc_lo, s2, v1
	s_delay_alu instid0(VALU_DEP_2) | instskip(SKIP_1) | instid1(VALU_DEP_3)
	v_add_co_ci_u32_e32 v4, vcc_lo, s3, v2, vcc_lo
	v_mov_b32_e32 v1, 0
	v_add_co_u32 v3, vcc_lo, v3, 8
	v_mov_b32_e32 v2, 0
	s_delay_alu instid0(VALU_DEP_4)
	v_add_co_ci_u32_e32 v4, vcc_lo, 0, v4, vcc_lo
	s_mov_b32 s3, 0
	s_branch .LBB23_4
	.p2align	6
.LBB23_3:                               ;   in Loop: Header=BB23_4 Depth=1
	s_or_b32 exec_lo, exec_lo, s9
	v_add_co_u32 v3, vcc_lo, v3, s14
	v_add_co_ci_u32_e32 v4, vcc_lo, s15, v4, vcc_lo
	s_addk_i32 s3, 0x100
	s_delay_alu instid0(SALU_CYCLE_1)
	s_cmp_ge_i32 s3, s12
	s_cbranch_scc1 .LBB23_7
.LBB23_4:                               ; =>This Inner Loop Header: Depth=1
	v_add_nc_u32_e32 v5, s3, v0
	s_mov_b32 s9, exec_lo
	s_delay_alu instid0(VALU_DEP_1)
	v_cmpx_gt_i32_e64 s11, v5
	s_cbranch_execz .LBB23_3
; %bb.5:                                ;   in Loop: Header=BB23_4 Depth=1
	global_load_b128 v[5:8], v[3:4], off offset:-8
	s_waitcnt vmcnt(0)
	v_cmp_neq_f64_e32 vcc_lo, 0, v[5:6]
	v_cmp_neq_f64_e64 s2, 0, v[7:8]
	s_delay_alu instid0(VALU_DEP_1) | instskip(NEXT) | instid1(SALU_CYCLE_1)
	s_or_b32 s2, vcc_lo, s2
	v_cndmask_b32_e64 v5, 0, 1, s2
	s_delay_alu instid0(VALU_DEP_1)
	v_add_co_u32 v1, vcc_lo, v1, v5
	v_add_co_ci_u32_e32 v2, vcc_lo, 0, v2, vcc_lo
	s_branch .LBB23_3
.LBB23_6:
	s_mov_b32 s10, 0
                                        ; implicit-def: $vgpr1_vgpr2
                                        ; implicit-def: $vgpr3_vgpr4
	s_cbranch_execnz .LBB23_10
	s_branch .LBB23_16
.LBB23_7:
	v_add_nc_u32_e32 v5, s12, v0
	s_mov_b32 s2, 0
	s_mov_b32 s10, 0
	s_mov_b32 s3, exec_lo
                                        ; implicit-def: $vgpr3_vgpr4
	s_delay_alu instid0(VALU_DEP_1)
	v_cmpx_gt_i32_e64 s11, v5
	s_xor_b32 s3, exec_lo, s3
	s_cbranch_execz .LBB23_9
; %bb.8:
	v_ashrrev_i32_e32 v6, 31, v5
	v_mul_lo_u32 v7, v5, s7
	v_mad_u64_u32 v[3:4], null, v5, s6, 0
	s_ashr_i32 s9, s8, 31
	s_delay_alu instid0(VALU_DEP_3) | instskip(SKIP_4) | instid1(VALU_DEP_1)
	v_mul_lo_u32 v5, v6, s6
	s_lshl_b64 s[14:15], s[8:9], 4
	s_mov_b32 s10, exec_lo
	s_add_u32 s9, s14, s4
	s_addc_u32 s13, s15, s5
	v_add3_u32 v4, v4, v7, v5
	s_delay_alu instid0(VALU_DEP_1) | instskip(NEXT) | instid1(VALU_DEP_1)
	v_lshlrev_b64 v[3:4], 4, v[3:4]
	v_add_co_u32 v3, vcc_lo, s9, v3
	s_delay_alu instid0(VALU_DEP_2)
	v_add_co_ci_u32_e32 v4, vcc_lo, s13, v4, vcc_lo
.LBB23_9:
	s_or_b32 exec_lo, exec_lo, s3
	s_delay_alu instid0(SALU_CYCLE_1)
	s_and_b32 vcc_lo, exec_lo, s2
	s_cbranch_vccz .LBB23_16
.LBB23_10:
	v_cmp_gt_i32_e32 vcc_lo, s11, v0
	s_mul_i32 s2, s8, s7
	s_mul_hi_u32 s3, s8, s6
	s_ashr_i32 s7, s8, 31
	v_mov_b32_e32 v1, 0
	v_dual_cndmask_b32 v3, 0, v0 :: v_dual_mov_b32 v2, 0
	s_add_i32 s2, s3, s2
	s_mul_i32 s7, s7, s6
	s_mul_i32 s6, s8, s6
	s_delay_alu instid0(VALU_DEP_1)
	v_lshlrev_b32_e32 v5, 4, v3
	s_add_i32 s7, s2, s7
	s_cmpk_lt_i32 s11, 0x100
	s_mov_b32 s9, 0
	s_cbranch_scc1 .LBB23_13
; %bb.11:
	s_lshl_b64 s[2:3], s[6:7], 4
	v_mov_b32_e32 v1, 0
	s_add_u32 s2, s4, s2
	s_addc_u32 s3, s5, s3
	v_add_co_u32 v3, s2, s2, v5
	s_delay_alu instid0(VALU_DEP_1) | instskip(SKIP_1) | instid1(VALU_DEP_3)
	v_add_co_ci_u32_e64 v4, null, s3, 0, s2
	v_mov_b32_e32 v2, 0
	v_add_co_u32 v3, vcc_lo, v3, 8
	s_delay_alu instid0(VALU_DEP_3)
	v_add_co_ci_u32_e32 v4, vcc_lo, 0, v4, vcc_lo
	.p2align	6
.LBB23_12:                              ; =>This Inner Loop Header: Depth=1
	global_load_b128 v[6:9], v[3:4], off offset:-8
	v_add_co_u32 v3, s3, 0x1000, v3
	s_addk_i32 s9, 0x100
	s_waitcnt vmcnt(0)
	v_cmp_neq_f64_e32 vcc_lo, 0, v[6:7]
	v_cmp_neq_f64_e64 s2, 0, v[8:9]
	s_delay_alu instid0(VALU_DEP_1) | instskip(SKIP_3) | instid1(VALU_DEP_1)
	s_or_b32 s2, vcc_lo, s2
	v_add_co_ci_u32_e64 v4, vcc_lo, 0, v4, s3
	v_cndmask_b32_e64 v6, 0, 1, s2
	s_cmp_ge_i32 s9, s12
	v_add_co_u32 v1, vcc_lo, v1, v6
	v_add_co_ci_u32_e32 v2, vcc_lo, 0, v2, vcc_lo
	s_cbranch_scc0 .LBB23_12
.LBB23_13:
	v_add_nc_u32_e32 v3, s12, v0
	s_delay_alu instid0(VALU_DEP_1)
	v_cmp_gt_i32_e32 vcc_lo, s11, v3
                                        ; implicit-def: $vgpr3_vgpr4
	s_and_saveexec_b32 s2, vcc_lo
; %bb.14:
	s_lshl_b64 s[6:7], s[6:7], 4
	s_delay_alu instid0(SALU_CYCLE_1) | instskip(SKIP_2) | instid1(SALU_CYCLE_1)
	s_add_u32 s3, s4, s6
	s_addc_u32 s6, s5, s7
	s_ashr_i32 s13, s12, 31
	s_lshl_b64 s[4:5], s[12:13], 4
	s_delay_alu instid0(SALU_CYCLE_1) | instskip(SKIP_2) | instid1(VALU_DEP_1)
	s_add_u32 s3, s4, s3
	s_addc_u32 s4, s5, s6
	v_add_co_u32 v3, s3, s3, v5
	v_add_co_ci_u32_e64 v4, null, s4, 0, s3
	s_or_b32 s10, s10, exec_lo
; %bb.15:
	s_or_b32 exec_lo, exec_lo, s2
.LBB23_16:
	s_and_saveexec_b32 s3, s10
	s_cbranch_execz .LBB23_18
; %bb.17:
	global_load_b128 v[3:6], v[3:4], off
	s_waitcnt vmcnt(0)
	v_cmp_neq_f64_e32 vcc_lo, 0, v[3:4]
	v_cmp_neq_f64_e64 s2, 0, v[5:6]
	s_delay_alu instid0(VALU_DEP_1) | instskip(NEXT) | instid1(SALU_CYCLE_1)
	s_or_b32 s2, vcc_lo, s2
	v_cndmask_b32_e64 v3, 0, 1, s2
	s_delay_alu instid0(VALU_DEP_1)
	v_add_co_u32 v1, vcc_lo, v1, v3
	v_add_co_ci_u32_e32 v2, vcc_lo, 0, v2, vcc_lo
.LBB23_18:
	s_or_b32 exec_lo, exec_lo, s3
	v_lshlrev_b32_e32 v3, 3, v0
	v_cmp_eq_u32_e32 vcc_lo, 0, v0
	s_cmpk_lt_i32 s11, 0x100
	s_mov_b32 s2, -1
	ds_store_b64 v3, v[1:2]
	s_waitcnt lgkmcnt(0)
	s_cbranch_scc0 .LBB23_29
; %bb.19:
	s_cmp_gt_i32 s11, 1
	s_mov_b32 s4, 1
	s_cselect_b32 s2, -1, 0
	s_barrier
	s_and_b32 s3, vcc_lo, s2
	buffer_gl0_inv
	s_and_saveexec_b32 s2, s3
	s_cbranch_execz .LBB23_28
; %bb.20:
	v_mov_b32_e32 v1, 0
	s_add_i32 s5, s11, -2
	s_add_i32 s3, s11, -1
	s_cmp_lt_u32 s5, 7
	ds_load_b64 v[1:2], v1
	s_cbranch_scc1 .LBB23_24
; %bb.21:
	s_and_b32 s4, s3, -8
	s_mov_b32 s6, 0
	s_mov_b32 s5, 8
	s_set_inst_prefetch_distance 0x1
	.p2align	6
.LBB23_22:                              ; =>This Inner Loop Header: Depth=1
	v_mov_b32_e32 v16, s5
	s_mov_b32 s7, s6
	s_add_i32 s6, s6, 8
	s_add_i32 s5, s5, 64
	s_cmp_lg_u32 s4, s6
	ds_load_2addr_b64 v[4:7], v16 offset1:1
	ds_load_2addr_b64 v[8:11], v16 offset0:2 offset1:3
	ds_load_2addr_b64 v[12:15], v16 offset0:4 offset1:5
	s_waitcnt lgkmcnt(2)
	v_add_co_u32 v1, vcc_lo, v1, v4
	v_add_co_ci_u32_e32 v2, vcc_lo, v2, v5, vcc_lo
	s_delay_alu instid0(VALU_DEP_2) | instskip(NEXT) | instid1(VALU_DEP_2)
	v_add_co_u32 v1, vcc_lo, v1, v6
	v_add_co_ci_u32_e32 v2, vcc_lo, v2, v7, vcc_lo
	ds_load_2addr_b64 v[4:7], v16 offset0:6 offset1:7
	s_waitcnt lgkmcnt(2)
	v_add_co_u32 v1, vcc_lo, v1, v8
	v_add_co_ci_u32_e32 v2, vcc_lo, v2, v9, vcc_lo
	s_delay_alu instid0(VALU_DEP_2) | instskip(NEXT) | instid1(VALU_DEP_2)
	v_add_co_u32 v1, vcc_lo, v1, v10
	v_add_co_ci_u32_e32 v2, vcc_lo, v2, v11, vcc_lo
	s_waitcnt lgkmcnt(1)
	s_delay_alu instid0(VALU_DEP_2) | instskip(NEXT) | instid1(VALU_DEP_2)
	v_add_co_u32 v1, vcc_lo, v1, v12
	v_add_co_ci_u32_e32 v2, vcc_lo, v2, v13, vcc_lo
	s_delay_alu instid0(VALU_DEP_2) | instskip(NEXT) | instid1(VALU_DEP_2)
	v_add_co_u32 v1, vcc_lo, v1, v14
	v_add_co_ci_u32_e32 v2, vcc_lo, v2, v15, vcc_lo
	s_waitcnt lgkmcnt(0)
	s_delay_alu instid0(VALU_DEP_2) | instskip(NEXT) | instid1(VALU_DEP_2)
	v_add_co_u32 v1, vcc_lo, v1, v4
	v_add_co_ci_u32_e32 v2, vcc_lo, v2, v5, vcc_lo
	s_delay_alu instid0(VALU_DEP_2) | instskip(NEXT) | instid1(VALU_DEP_2)
	v_add_co_u32 v1, vcc_lo, v1, v6
	v_add_co_ci_u32_e32 v2, vcc_lo, v2, v7, vcc_lo
	s_cbranch_scc1 .LBB23_22
; %bb.23:
	s_set_inst_prefetch_distance 0x2
	s_add_i32 s4, s7, 9
.LBB23_24:
	s_and_b32 s3, s3, 7
	s_delay_alu instid0(SALU_CYCLE_1)
	s_cmp_eq_u32 s3, 0
	s_cbranch_scc1 .LBB23_27
; %bb.25:
	s_lshl_b32 s4, s4, 3
.LBB23_26:                              ; =>This Inner Loop Header: Depth=1
	s_delay_alu instid0(SALU_CYCLE_1)
	v_mov_b32_e32 v4, s4
	s_add_i32 s3, s3, -1
	s_add_i32 s4, s4, 8
	s_cmp_lg_u32 s3, 0
	ds_load_b64 v[4:5], v4
	s_waitcnt lgkmcnt(0)
	v_add_co_u32 v1, vcc_lo, v1, v4
	v_add_co_ci_u32_e32 v2, vcc_lo, v2, v5, vcc_lo
	s_cbranch_scc1 .LBB23_26
.LBB23_27:
	v_mov_b32_e32 v4, 0
	s_waitcnt lgkmcnt(0)
	ds_store_b64 v4, v[1:2]
.LBB23_28:
	s_or_b32 exec_lo, exec_lo, s2
	s_mov_b32 s2, 0
	s_waitcnt lgkmcnt(0)
	s_barrier
.LBB23_29:
	s_and_b32 vcc_lo, exec_lo, s2
	s_cbranch_vccz .LBB23_47
; %bb.30:
	s_mov_b32 s2, exec_lo
	s_barrier
	buffer_gl0_inv
	v_cmpx_gt_u32_e32 0x80, v0
	s_cbranch_execz .LBB23_32
; %bb.31:
	ds_load_2addr_stride64_b64 v[4:7], v3 offset1:2
	s_waitcnt lgkmcnt(0)
	v_add_co_u32 v1, vcc_lo, v4, v6
	v_add_co_ci_u32_e32 v2, vcc_lo, v5, v7, vcc_lo
	ds_store_b64 v3, v[1:2]
.LBB23_32:
	s_or_b32 exec_lo, exec_lo, s2
	s_delay_alu instid0(SALU_CYCLE_1)
	s_mov_b32 s2, exec_lo
	s_waitcnt lgkmcnt(0)
	s_barrier
	buffer_gl0_inv
	v_cmpx_gt_u32_e32 64, v0
	s_cbranch_execz .LBB23_34
; %bb.33:
	ds_load_2addr_stride64_b64 v[4:7], v3 offset1:1
	s_waitcnt lgkmcnt(0)
	v_add_co_u32 v1, vcc_lo, v4, v6
	v_add_co_ci_u32_e32 v2, vcc_lo, v5, v7, vcc_lo
	ds_store_b64 v3, v[1:2]
.LBB23_34:
	s_or_b32 exec_lo, exec_lo, s2
	s_delay_alu instid0(SALU_CYCLE_1)
	s_mov_b32 s2, exec_lo
	s_waitcnt lgkmcnt(0)
	s_barrier
	buffer_gl0_inv
	v_cmpx_gt_u32_e32 32, v0
	s_cbranch_execz .LBB23_36
; %bb.35:
	ds_load_2addr_b64 v[4:7], v3 offset1:32
	s_waitcnt lgkmcnt(0)
	v_add_co_u32 v1, vcc_lo, v4, v6
	v_add_co_ci_u32_e32 v2, vcc_lo, v5, v7, vcc_lo
	ds_store_b64 v3, v[1:2]
.LBB23_36:
	s_or_b32 exec_lo, exec_lo, s2
	s_delay_alu instid0(SALU_CYCLE_1)
	s_mov_b32 s2, exec_lo
	s_waitcnt lgkmcnt(0)
	s_barrier
	buffer_gl0_inv
	v_cmpx_gt_u32_e32 16, v0
	s_cbranch_execz .LBB23_38
; %bb.37:
	ds_load_2addr_b64 v[4:7], v3 offset1:16
	s_waitcnt lgkmcnt(0)
	v_add_co_u32 v1, vcc_lo, v4, v6
	v_add_co_ci_u32_e32 v2, vcc_lo, v5, v7, vcc_lo
	ds_store_b64 v3, v[1:2]
.LBB23_38:
	;; [unrolled: 15-line block ×5, first 2 shown]
	s_or_b32 exec_lo, exec_lo, s2
	s_delay_alu instid0(SALU_CYCLE_1)
	s_mov_b32 s2, exec_lo
	s_waitcnt lgkmcnt(0)
	s_barrier
	buffer_gl0_inv
	v_cmpx_eq_u32_e32 0, v0
	s_cbranch_execz .LBB23_46
; %bb.45:
	v_mov_b32_e32 v5, 0
	ds_load_b128 v[1:4], v5
	s_waitcnt lgkmcnt(0)
	v_add_co_u32 v1, vcc_lo, v1, v3
	v_add_co_ci_u32_e32 v2, vcc_lo, v2, v4, vcc_lo
	ds_store_b64 v5, v[1:2]
.LBB23_46:
	s_or_b32 exec_lo, exec_lo, s2
	s_waitcnt lgkmcnt(0)
	s_barrier
.LBB23_47:
	buffer_gl0_inv
	s_mov_b32 s2, exec_lo
	v_cmpx_eq_u32_e32 0, v0
	s_cbranch_execz .LBB23_49
; %bb.48:
	v_mov_b32_e32 v2, 0
	s_load_b64 s[0:1], s[0:1], 0x20
	s_ashr_i32 s9, s8, 31
	s_delay_alu instid0(SALU_CYCLE_1)
	s_lshl_b64 s[2:3], s[8:9], 3
	ds_load_b64 v[0:1], v2
	s_waitcnt lgkmcnt(0)
	s_add_u32 s0, s0, s2
	s_addc_u32 s1, s1, s3
	global_store_b64 v2, v[0:1], s[0:1]
.LBB23_49:
	s_nop 0
	s_sendmsg sendmsg(MSG_DEALLOC_VGPRS)
	s_endpgm
	.section	.rodata,"a",@progbits
	.p2align	6, 0x0
	.amdhsa_kernel _ZN9rocsparseL14nnz_kernel_colILi256Eli21rocsparse_complex_numIdEEEv16rocsparse_order_T1_S4_PKT2_lPT0_
		.amdhsa_group_segment_fixed_size 2048
		.amdhsa_private_segment_fixed_size 0
		.amdhsa_kernarg_size 40
		.amdhsa_user_sgpr_count 15
		.amdhsa_user_sgpr_dispatch_ptr 0
		.amdhsa_user_sgpr_queue_ptr 0
		.amdhsa_user_sgpr_kernarg_segment_ptr 1
		.amdhsa_user_sgpr_dispatch_id 0
		.amdhsa_user_sgpr_private_segment_size 0
		.amdhsa_wavefront_size32 1
		.amdhsa_uses_dynamic_stack 0
		.amdhsa_enable_private_segment 0
		.amdhsa_system_sgpr_workgroup_id_x 1
		.amdhsa_system_sgpr_workgroup_id_y 0
		.amdhsa_system_sgpr_workgroup_id_z 0
		.amdhsa_system_sgpr_workgroup_info 0
		.amdhsa_system_vgpr_workitem_id 0
		.amdhsa_next_free_vgpr 17
		.amdhsa_next_free_sgpr 16
		.amdhsa_reserve_vcc 1
		.amdhsa_float_round_mode_32 0
		.amdhsa_float_round_mode_16_64 0
		.amdhsa_float_denorm_mode_32 3
		.amdhsa_float_denorm_mode_16_64 3
		.amdhsa_dx10_clamp 1
		.amdhsa_ieee_mode 1
		.amdhsa_fp16_overflow 0
		.amdhsa_workgroup_processor_mode 1
		.amdhsa_memory_ordered 1
		.amdhsa_forward_progress 0
		.amdhsa_shared_vgpr_count 0
		.amdhsa_exception_fp_ieee_invalid_op 0
		.amdhsa_exception_fp_denorm_src 0
		.amdhsa_exception_fp_ieee_div_zero 0
		.amdhsa_exception_fp_ieee_overflow 0
		.amdhsa_exception_fp_ieee_underflow 0
		.amdhsa_exception_fp_ieee_inexact 0
		.amdhsa_exception_int_div_zero 0
	.end_amdhsa_kernel
	.section	.text._ZN9rocsparseL14nnz_kernel_colILi256Eli21rocsparse_complex_numIdEEEv16rocsparse_order_T1_S4_PKT2_lPT0_,"axG",@progbits,_ZN9rocsparseL14nnz_kernel_colILi256Eli21rocsparse_complex_numIdEEEv16rocsparse_order_T1_S4_PKT2_lPT0_,comdat
.Lfunc_end23:
	.size	_ZN9rocsparseL14nnz_kernel_colILi256Eli21rocsparse_complex_numIdEEEv16rocsparse_order_T1_S4_PKT2_lPT0_, .Lfunc_end23-_ZN9rocsparseL14nnz_kernel_colILi256Eli21rocsparse_complex_numIdEEEv16rocsparse_order_T1_S4_PKT2_lPT0_
                                        ; -- End function
	.section	.AMDGPU.csdata,"",@progbits
; Kernel info:
; codeLenInByte = 1860
; NumSgprs: 18
; NumVgprs: 17
; ScratchSize: 0
; MemoryBound: 0
; FloatMode: 240
; IeeeMode: 1
; LDSByteSize: 2048 bytes/workgroup (compile time only)
; SGPRBlocks: 2
; VGPRBlocks: 2
; NumSGPRsForWavesPerEU: 18
; NumVGPRsForWavesPerEU: 17
; Occupancy: 16
; WaveLimiterHint : 0
; COMPUTE_PGM_RSRC2:SCRATCH_EN: 0
; COMPUTE_PGM_RSRC2:USER_SGPR: 15
; COMPUTE_PGM_RSRC2:TRAP_HANDLER: 0
; COMPUTE_PGM_RSRC2:TGID_X_EN: 1
; COMPUTE_PGM_RSRC2:TGID_Y_EN: 0
; COMPUTE_PGM_RSRC2:TGID_Z_EN: 0
; COMPUTE_PGM_RSRC2:TIDIG_COMP_CNT: 0
	.section	.text._ZN9rocsparseL14nnz_kernel_rowILi64ELi16Ell18rocsparse_bfloat16EEv16rocsparse_order_T2_S3_PKT3_lPT1_,"axG",@progbits,_ZN9rocsparseL14nnz_kernel_rowILi64ELi16Ell18rocsparse_bfloat16EEv16rocsparse_order_T2_S3_PKT3_lPT1_,comdat
	.globl	_ZN9rocsparseL14nnz_kernel_rowILi64ELi16Ell18rocsparse_bfloat16EEv16rocsparse_order_T2_S3_PKT3_lPT1_ ; -- Begin function _ZN9rocsparseL14nnz_kernel_rowILi64ELi16Ell18rocsparse_bfloat16EEv16rocsparse_order_T2_S3_PKT3_lPT1_
	.p2align	8
	.type	_ZN9rocsparseL14nnz_kernel_rowILi64ELi16Ell18rocsparse_bfloat16EEv16rocsparse_order_T2_S3_PKT3_lPT1_,@function
_ZN9rocsparseL14nnz_kernel_rowILi64ELi16Ell18rocsparse_bfloat16EEv16rocsparse_order_T2_S3_PKT3_lPT1_: ; @_ZN9rocsparseL14nnz_kernel_rowILi64ELi16Ell18rocsparse_bfloat16EEv16rocsparse_order_T2_S3_PKT3_lPT1_
; %bb.0:
	s_clause 0x2
	s_load_b32 s2, s[0:1], 0x3c
	s_load_b256 s[16:23], s[0:1], 0x8
	s_load_b64 s[6:7], s[0:1], 0x28
	s_mov_b32 s8, 0
	s_lshl_b32 s5, s15, 8
	s_mov_b32 s9, s8
	s_mov_b32 s10, s8
	;; [unrolled: 1-line block ×7, first 2 shown]
	v_and_b32_e32 v1, 0x3ff, v0
	v_bfe_u32 v0, v0, 10, 10
	s_load_b32 s28, s[0:1], 0x0
	s_mov_b32 s29, exec_lo
	s_waitcnt lgkmcnt(0)
	s_and_b32 s0, s2, 0xffff
	s_delay_alu instid0(SALU_CYCLE_1) | instskip(SKIP_1) | instid1(SALU_CYCLE_1)
	v_mad_u32_u24 v30, v0, s0, v1
	s_ashr_i32 s0, s19, 31
	s_lshr_b32 s0, s0, 26
	s_delay_alu instid0(SALU_CYCLE_1) | instskip(NEXT) | instid1(VALU_DEP_1)
	s_add_u32 s0, s18, s0
	v_lshrrev_b32_e32 v0, 4, v30
	v_and_b32_e32 v31, 63, v30
	v_mov_b32_e32 v19, 0
	s_addc_u32 s27, s19, 0
	s_and_b32 s26, s0, 0xffffffc0
	v_and_b32_e32 v16, 0x7ffffc, v0
	v_mov_b32_e32 v0, s8
	v_or_b32_e32 v18, s5, v31
	v_dual_mov_b32 v17, v19 :: v_dual_mov_b32 v4, s12
	v_dual_mov_b32 v1, s9 :: v_dual_mov_b32 v6, s14
	v_dual_mov_b32 v2, s10 :: v_dual_mov_b32 v3, s11
	v_mov_b32_e32 v5, s13
	v_mov_b32_e32 v7, s15
	v_or_b32_e32 v24, 64, v18
	v_or_b32_e32 v22, 0x80, v18
	;; [unrolled: 1-line block ×3, first 2 shown]
	s_sub_u32 s24, s18, s26
	s_subb_u32 s25, s19, s27
	v_cmpx_gt_i64_e64 s[26:27], v[16:17]
	s_cbranch_execz .LBB24_28
; %bb.1:
	v_add_co_u32 v0, s0, s5, v31
	s_delay_alu instid0(VALU_DEP_1) | instskip(SKIP_1) | instid1(VALU_DEP_3)
	v_add_co_ci_u32_e64 v1, null, 0, 0, s0
	v_lshrrev_b32_e32 v11, 6, v30
	v_mul_lo_u32 v4, s23, v0
	v_mad_u64_u32 v[2:3], null, s22, v0, 0
	s_delay_alu instid0(VALU_DEP_4) | instskip(SKIP_3) | instid1(VALU_DEP_3)
	v_mul_lo_u32 v5, s22, v1
	v_add_co_u32 v6, vcc_lo, v0, 64
	v_add_co_ci_u32_e32 v7, vcc_lo, 0, v1, vcc_lo
	v_mov_b32_e32 v21, v19
	v_mul_lo_u32 v8, s23, v6
	v_add_co_u32 v9, vcc_lo, 0x80, v0
	v_add3_u32 v3, v3, v5, v4
	v_mul_lo_u32 v7, s22, v7
	v_mad_u64_u32 v[4:5], null, s22, v6, 0
	v_lshlrev_b32_e32 v13, 3, v11
	s_delay_alu instid0(VALU_DEP_4)
	v_lshlrev_b64 v[2:3], 1, v[2:3]
	v_mov_b32_e32 v23, v19
	v_add_co_ci_u32_e32 v6, vcc_lo, 0, v1, vcc_lo
	v_cmp_gt_i64_e64 s3, s[16:17], v[20:21]
	v_add3_u32 v5, v5, v7, v8
	v_add_co_u32 v21, vcc_lo, v2, v13
	v_cmp_gt_i64_e64 s2, s[16:17], v[22:23]
	v_mul_lo_u32 v8, s23, v9
	v_mul_lo_u32 v10, s22, v6
	v_mad_u64_u32 v[6:7], null, s22, v9, 0
	v_add_co_ci_u32_e32 v23, vcc_lo, 0, v3, vcc_lo
	v_add_co_u32 v9, vcc_lo, 0xc0, v0
	v_lshlrev_b64 v[2:3], 1, v[4:5]
	v_add_co_ci_u32_e32 v4, vcc_lo, 0, v1, vcc_lo
	v_lshlrev_b64 v[0:1], 1, v[0:1]
	v_mov_b32_e32 v25, v19
	v_add3_u32 v7, v7, v10, v8
	v_mul_lo_u32 v10, s23, v9
	v_or_b32_e32 v12, 6, v13
	v_mul_lo_u32 v14, s22, v4
	v_mad_u64_u32 v[4:5], null, s22, v9, 0
	v_cmp_gt_i64_e64 s1, s[16:17], v[24:25]
	s_delay_alu instid0(VALU_DEP_4)
	v_mad_u64_u32 v[25:26], null, s22, v12, v[0:1]
	v_add_co_u32 v32, vcc_lo, v2, v13
	v_add_co_ci_u32_e32 v33, vcc_lo, 0, v3, vcc_lo
	v_add3_u32 v5, v5, v14, v10
	v_or_b32_e32 v14, 4, v13
	v_lshlrev_b64 v[2:3], 1, v[6:7]
	v_mov_b32_e32 v6, v26
	v_mad_u64_u32 v[8:9], null, s22, v11, 0
	s_delay_alu instid0(VALU_DEP_4) | instskip(NEXT) | instid1(VALU_DEP_4)
	v_mad_u64_u32 v[26:27], null, s22, v14, v[0:1]
	v_add_co_u32 v34, vcc_lo, v2, v13
	v_add_co_ci_u32_e32 v35, vcc_lo, 0, v3, vcc_lo
	v_lshlrev_b64 v[2:3], 1, v[4:5]
	s_delay_alu instid0(VALU_DEP_4) | instskip(SKIP_3) | instid1(VALU_DEP_3)
	v_dual_mov_b32 v7, v9 :: v_dual_mov_b32 v4, v27
	v_or_b32_e32 v15, 2, v13
	v_cmp_gt_i64_e64 s0, s[16:17], v[18:19]
	s_cmp_lg_u32 s28, 1
	v_mad_u64_u32 v[9:10], null, s23, v11, v[7:8]
	s_delay_alu instid0(VALU_DEP_3) | instskip(SKIP_2) | instid1(VALU_DEP_3)
	v_mad_u64_u32 v[28:29], null, s22, v15, v[0:1]
	v_mad_u64_u32 v[10:11], null, s23, v12, v[6:7]
	v_add_co_u32 v27, vcc_lo, v2, v13
	v_mov_b32_e32 v5, v29
	v_add_co_ci_u32_e32 v29, vcc_lo, 0, v3, vcc_lo
	s_delay_alu instid0(VALU_DEP_4) | instskip(NEXT) | instid1(VALU_DEP_3)
	v_mov_b32_e32 v36, v10
	v_mad_u64_u32 v[6:7], null, s23, v14, v[4:5]
	s_delay_alu instid0(VALU_DEP_1) | instskip(SKIP_2) | instid1(VALU_DEP_2)
	v_mad_u64_u32 v[11:12], null, s23, v15, v[5:6]
	v_lshlrev_b64 v[4:5], 3, v[8:9]
	v_mov_b32_e32 v37, v6
	v_add_co_u32 v39, vcc_lo, v4, v0
	s_delay_alu instid0(VALU_DEP_3)
	v_add_co_ci_u32_e32 v40, vcc_lo, v5, v1, vcc_lo
	v_mov_b32_e32 v0, s8
	v_mov_b32_e32 v4, s12
	v_dual_mov_b32 v38, v11 :: v_dual_mov_b32 v1, s9
	v_mov_b32_e32 v6, s14
	v_dual_mov_b32 v2, s10 :: v_dual_mov_b32 v3, s11
	v_mov_b32_e32 v5, s13
	v_mov_b32_e32 v7, s15
	s_cselect_b32 s9, -1, 0
	s_lshl_b64 s[10:11], s[22:23], 7
	s_branch .LBB24_4
.LBB24_2:                               ;   in Loop: Header=BB24_4 Depth=1
	s_delay_alu instid0(VALU_DEP_1) | instskip(NEXT) | instid1(VALU_DEP_3)
	v_dual_mov_b32 v0, v8 :: v_dual_mov_b32 v1, v9
	v_dual_mov_b32 v2, v10 :: v_dual_mov_b32 v3, v11
	;; [unrolled: 1-line block ×4, first 2 shown]
.LBB24_3:                               ;   in Loop: Header=BB24_4 Depth=1
	s_or_b32 exec_lo, exec_lo, s4
	v_add_co_u32 v16, vcc_lo, v16, 64
	v_add_co_ci_u32_e32 v17, vcc_lo, 0, v17, vcc_lo
	v_add_co_u32 v21, vcc_lo, 0x80, v21
	v_add_co_ci_u32_e32 v23, vcc_lo, 0, v23, vcc_lo
	;; [unrolled: 2-line block ×8, first 2 shown]
	v_cmp_le_i64_e32 vcc_lo, s[26:27], v[16:17]
	v_add_co_u32 v39, s4, v39, s10
	s_delay_alu instid0(VALU_DEP_1) | instskip(SKIP_1) | instid1(SALU_CYCLE_1)
	v_add_co_ci_u32_e64 v40, s4, s11, v40, s4
	s_or_b32 s8, vcc_lo, s8
	s_and_not1_b32 exec_lo, exec_lo, s8
	s_cbranch_execz .LBB24_27
.LBB24_4:                               ; =>This Inner Loop Header: Depth=1
	s_and_saveexec_b32 s4, s0
	s_cbranch_execnz .LBB24_8
; %bb.5:                                ;   in Loop: Header=BB24_4 Depth=1
	s_or_b32 exec_lo, exec_lo, s4
	s_and_saveexec_b32 s4, s1
	s_cbranch_execnz .LBB24_13
.LBB24_6:                               ;   in Loop: Header=BB24_4 Depth=1
	s_or_b32 exec_lo, exec_lo, s4
	s_and_saveexec_b32 s4, s2
	s_cbranch_execnz .LBB24_18
.LBB24_7:                               ;   in Loop: Header=BB24_4 Depth=1
	s_or_b32 exec_lo, exec_lo, s4
	s_and_saveexec_b32 s4, s3
	s_cbranch_execz .LBB24_3
	s_branch .LBB24_23
.LBB24_8:                               ;   in Loop: Header=BB24_4 Depth=1
	s_and_not1_b32 vcc_lo, exec_lo, s9
	s_cbranch_vccnz .LBB24_10
; %bb.9:                                ;   in Loop: Header=BB24_4 Depth=1
	v_add_co_u32 v8, vcc_lo, s20, v21
	v_add_co_ci_u32_e32 v9, vcc_lo, s21, v23, vcc_lo
	v_add_co_u32 v11, vcc_lo, v0, 1
	v_add_co_ci_u32_e32 v12, vcc_lo, 0, v1, vcc_lo
	global_load_b64 v[8:9], v[8:9], off
	v_mov_b32_e32 v14, v6
	s_waitcnt vmcnt(0)
	v_and_b32_e32 v10, 0x7fff, v8
	v_lshrrev_b32_e32 v8, 16, v8
	s_delay_alu instid0(VALU_DEP_2) | instskip(NEXT) | instid1(VALU_DEP_2)
	v_cmp_eq_u16_e32 vcc_lo, 0, v10
	v_and_b32_e32 v8, 0x7fff, v8
	v_dual_cndmask_b32 v10, v12, v1 :: v_dual_cndmask_b32 v11, v11, v0
	s_delay_alu instid0(VALU_DEP_1) | instskip(NEXT) | instid1(VALU_DEP_2)
	v_add_co_u32 v12, vcc_lo, v11, 1
	v_add_co_ci_u32_e32 v13, vcc_lo, 0, v10, vcc_lo
	s_delay_alu instid0(VALU_DEP_4) | instskip(NEXT) | instid1(VALU_DEP_2)
	v_cmp_eq_u16_e32 vcc_lo, 0, v8
	v_cndmask_b32_e32 v8, v13, v10, vcc_lo
	s_delay_alu instid0(VALU_DEP_4) | instskip(SKIP_1) | instid1(VALU_DEP_1)
	v_dual_cndmask_b32 v10, v12, v11 :: v_dual_and_b32 v11, 0x7fff, v9
	v_lshrrev_b32_e32 v9, 16, v9
	v_and_b32_e32 v9, 0x7fff, v9
	s_delay_alu instid0(VALU_DEP_3) | instskip(SKIP_3) | instid1(VALU_DEP_3)
	v_add_co_u32 v12, vcc_lo, v10, 1
	v_add_co_ci_u32_e32 v13, vcc_lo, 0, v8, vcc_lo
	v_cmp_eq_u16_e32 vcc_lo, 0, v11
	v_mov_b32_e32 v11, v3
	v_dual_cndmask_b32 v15, v12, v10 :: v_dual_cndmask_b32 v8, v13, v8
	v_dual_mov_b32 v10, v2 :: v_dual_mov_b32 v13, v5
	s_delay_alu instid0(VALU_DEP_2) | instskip(NEXT) | instid1(VALU_DEP_3)
	v_add_co_u32 v41, vcc_lo, v15, 1
	v_add_co_ci_u32_e32 v42, vcc_lo, 0, v8, vcc_lo
	v_cmp_eq_u16_e32 vcc_lo, 0, v9
	s_delay_alu instid0(VALU_DEP_2) | instskip(NEXT) | instid1(VALU_DEP_4)
	v_dual_mov_b32 v12, v4 :: v_dual_cndmask_b32 v9, v42, v8
	v_dual_cndmask_b32 v8, v41, v15 :: v_dual_mov_b32 v15, v7
	s_cbranch_execz .LBB24_11
	s_branch .LBB24_12
.LBB24_10:                              ;   in Loop: Header=BB24_4 Depth=1
                                        ; implicit-def: $vgpr8_vgpr9_vgpr10_vgpr11_vgpr12_vgpr13_vgpr14_vgpr15
.LBB24_11:                              ;   in Loop: Header=BB24_4 Depth=1
	v_add_co_u32 v8, vcc_lo, s20, v39
	v_add_co_ci_u32_e32 v9, vcc_lo, s21, v40, vcc_lo
	global_load_u16 v10, v[8:9], off
	v_add_co_u32 v8, vcc_lo, s20, v28
	v_add_co_ci_u32_e32 v9, vcc_lo, s21, v38, vcc_lo
	global_load_u16 v11, v[8:9], off
	;; [unrolled: 3-line block ×4, first 2 shown]
	s_waitcnt vmcnt(3)
	v_and_b32_e32 v9, 0x7fff, v10
	v_add_co_u32 v10, vcc_lo, v0, 1
	v_add_co_ci_u32_e32 v13, vcc_lo, 0, v1, vcc_lo
	s_delay_alu instid0(VALU_DEP_3) | instskip(SKIP_1) | instid1(VALU_DEP_3)
	v_cmp_eq_u16_e32 vcc_lo, 0, v9
	s_waitcnt vmcnt(2)
	v_dual_cndmask_b32 v0, v10, v0 :: v_dual_and_b32 v9, 0x7fff, v11
	s_delay_alu instid0(VALU_DEP_3) | instskip(NEXT) | instid1(VALU_DEP_2)
	v_cndmask_b32_e32 v1, v13, v1, vcc_lo
	v_add_co_u32 v10, vcc_lo, v0, 1
	s_delay_alu instid0(VALU_DEP_2) | instskip(NEXT) | instid1(VALU_DEP_4)
	v_add_co_ci_u32_e32 v11, vcc_lo, 0, v1, vcc_lo
	v_cmp_eq_u16_e32 vcc_lo, 0, v9
	s_waitcnt vmcnt(1)
	v_and_b32_e32 v9, 0x7fff, v12
	s_delay_alu instid0(VALU_DEP_3) | instskip(SKIP_2) | instid1(VALU_DEP_2)
	v_dual_cndmask_b32 v0, v10, v0 :: v_dual_cndmask_b32 v1, v11, v1
	s_waitcnt vmcnt(0)
	v_and_b32_e32 v8, 0x7fff, v8
	v_add_co_u32 v10, vcc_lo, v0, 1
	s_delay_alu instid0(VALU_DEP_3) | instskip(SKIP_1) | instid1(VALU_DEP_2)
	v_add_co_ci_u32_e32 v11, vcc_lo, 0, v1, vcc_lo
	v_cmp_eq_u16_e32 vcc_lo, 0, v9
	v_dual_cndmask_b32 v0, v10, v0 :: v_dual_cndmask_b32 v1, v11, v1
	s_delay_alu instid0(VALU_DEP_1) | instskip(NEXT) | instid1(VALU_DEP_2)
	v_add_co_u32 v9, vcc_lo, v0, 1
	v_add_co_ci_u32_e32 v10, vcc_lo, 0, v1, vcc_lo
	v_cmp_eq_u16_e32 vcc_lo, 0, v8
	s_delay_alu instid0(VALU_DEP_2) | instskip(SKIP_3) | instid1(VALU_DEP_4)
	v_dual_cndmask_b32 v0, v9, v0 :: v_dual_cndmask_b32 v1, v10, v1
	v_dual_mov_b32 v15, v7 :: v_dual_mov_b32 v12, v4
	v_dual_mov_b32 v14, v6 :: v_dual_mov_b32 v13, v5
	;; [unrolled: 1-line block ×4, first 2 shown]
.LBB24_12:                              ;   in Loop: Header=BB24_4 Depth=1
	s_delay_alu instid0(VALU_DEP_1) | instskip(NEXT) | instid1(VALU_DEP_3)
	v_dual_mov_b32 v0, v8 :: v_dual_mov_b32 v1, v9
	v_dual_mov_b32 v2, v10 :: v_dual_mov_b32 v3, v11
	;; [unrolled: 1-line block ×4, first 2 shown]
	s_or_b32 exec_lo, exec_lo, s4
	s_and_saveexec_b32 s4, s1
	s_cbranch_execz .LBB24_6
.LBB24_13:                              ;   in Loop: Header=BB24_4 Depth=1
	s_and_not1_b32 vcc_lo, exec_lo, s9
	s_cbranch_vccnz .LBB24_15
; %bb.14:                               ;   in Loop: Header=BB24_4 Depth=1
	v_add_co_u32 v8, vcc_lo, s20, v32
	v_add_co_ci_u32_e32 v9, vcc_lo, s21, v33, vcc_lo
	v_add_co_u32 v11, vcc_lo, v2, 1
	v_add_co_ci_u32_e32 v12, vcc_lo, 0, v3, vcc_lo
	global_load_b64 v[8:9], v[8:9], off
	v_mov_b32_e32 v14, v6
	s_waitcnt vmcnt(0)
	v_and_b32_e32 v10, 0x7fff, v8
	v_lshrrev_b32_e32 v8, 16, v8
	s_delay_alu instid0(VALU_DEP_2) | instskip(NEXT) | instid1(VALU_DEP_2)
	v_cmp_eq_u16_e32 vcc_lo, 0, v10
	v_dual_cndmask_b32 v11, v11, v2 :: v_dual_and_b32 v8, 0x7fff, v8
	v_cndmask_b32_e32 v10, v12, v3, vcc_lo
	s_delay_alu instid0(VALU_DEP_2) | instskip(NEXT) | instid1(VALU_DEP_2)
	v_add_co_u32 v12, vcc_lo, v11, 1
	v_add_co_ci_u32_e32 v13, vcc_lo, 0, v10, vcc_lo
	s_delay_alu instid0(VALU_DEP_4) | instskip(NEXT) | instid1(VALU_DEP_2)
	v_cmp_eq_u16_e32 vcc_lo, 0, v8
	v_cndmask_b32_e32 v8, v13, v10, vcc_lo
	s_delay_alu instid0(VALU_DEP_4) | instskip(NEXT) | instid1(VALU_DEP_1)
	v_dual_cndmask_b32 v10, v12, v11 :: v_dual_and_b32 v11, 0x7fff, v9
	v_add_co_u32 v12, vcc_lo, v10, 1
	s_delay_alu instid0(VALU_DEP_3) | instskip(NEXT) | instid1(VALU_DEP_3)
	v_add_co_ci_u32_e32 v13, vcc_lo, 0, v8, vcc_lo
	v_cmp_eq_u16_e32 vcc_lo, 0, v11
	v_lshrrev_b32_e32 v11, 16, v9
	v_mov_b32_e32 v9, v1
	s_delay_alu instid0(VALU_DEP_2) | instskip(SKIP_2) | instid1(VALU_DEP_2)
	v_and_b32_e32 v11, 0x7fff, v11
	v_dual_cndmask_b32 v15, v13, v8 :: v_dual_cndmask_b32 v10, v12, v10
	v_dual_mov_b32 v13, v5 :: v_dual_mov_b32 v12, v4
	v_add_co_u32 v41, vcc_lo, v10, 1
	s_delay_alu instid0(VALU_DEP_3) | instskip(SKIP_1) | instid1(VALU_DEP_2)
	v_add_co_ci_u32_e32 v42, vcc_lo, 0, v15, vcc_lo
	v_cmp_eq_u16_e32 vcc_lo, 0, v11
	v_dual_mov_b32 v8, v0 :: v_dual_cndmask_b32 v11, v42, v15
	s_delay_alu instid0(VALU_DEP_4)
	v_dual_cndmask_b32 v10, v41, v10 :: v_dual_mov_b32 v15, v7
	s_cbranch_execz .LBB24_16
	s_branch .LBB24_17
.LBB24_15:                              ;   in Loop: Header=BB24_4 Depth=1
                                        ; implicit-def: $vgpr8_vgpr9_vgpr10_vgpr11_vgpr12_vgpr13_vgpr14_vgpr15
.LBB24_16:                              ;   in Loop: Header=BB24_4 Depth=1
	v_add_co_u32 v8, vcc_lo, s20, v39
	v_add_co_ci_u32_e32 v9, vcc_lo, s21, v40, vcc_lo
	global_load_u16 v10, v[8:9], off offset:128
	v_add_co_u32 v8, vcc_lo, s20, v28
	v_add_co_ci_u32_e32 v9, vcc_lo, s21, v38, vcc_lo
	global_load_u16 v11, v[8:9], off offset:128
	;; [unrolled: 3-line block ×4, first 2 shown]
	s_waitcnt vmcnt(3)
	v_and_b32_e32 v9, 0x7fff, v10
	v_add_co_u32 v10, vcc_lo, v2, 1
	v_add_co_ci_u32_e32 v13, vcc_lo, 0, v3, vcc_lo
	s_delay_alu instid0(VALU_DEP_3) | instskip(NEXT) | instid1(VALU_DEP_2)
	v_cmp_eq_u16_e32 vcc_lo, 0, v9
	v_dual_cndmask_b32 v3, v13, v3 :: v_dual_cndmask_b32 v2, v10, v2
	s_delay_alu instid0(VALU_DEP_1) | instskip(SKIP_2) | instid1(VALU_DEP_3)
	v_add_co_u32 v10, vcc_lo, v2, 1
	s_waitcnt vmcnt(2)
	v_and_b32_e32 v9, 0x7fff, v11
	v_add_co_ci_u32_e32 v11, vcc_lo, 0, v3, vcc_lo
	s_delay_alu instid0(VALU_DEP_2)
	v_cmp_eq_u16_e32 vcc_lo, 0, v9
	s_waitcnt vmcnt(1)
	v_and_b32_e32 v9, 0x7fff, v12
	s_waitcnt vmcnt(0)
	v_and_b32_e32 v8, 0x7fff, v8
	v_dual_cndmask_b32 v2, v10, v2 :: v_dual_cndmask_b32 v3, v11, v3
	s_delay_alu instid0(VALU_DEP_1) | instskip(NEXT) | instid1(VALU_DEP_2)
	v_add_co_u32 v10, vcc_lo, v2, 1
	v_add_co_ci_u32_e32 v11, vcc_lo, 0, v3, vcc_lo
	v_cmp_eq_u16_e32 vcc_lo, 0, v9
	s_delay_alu instid0(VALU_DEP_2) | instskip(NEXT) | instid1(VALU_DEP_1)
	v_dual_cndmask_b32 v2, v10, v2 :: v_dual_cndmask_b32 v3, v11, v3
	v_add_co_u32 v9, vcc_lo, v2, 1
	s_delay_alu instid0(VALU_DEP_2) | instskip(SKIP_1) | instid1(VALU_DEP_2)
	v_add_co_ci_u32_e32 v10, vcc_lo, 0, v3, vcc_lo
	v_cmp_eq_u16_e32 vcc_lo, 0, v8
	v_dual_cndmask_b32 v3, v10, v3 :: v_dual_cndmask_b32 v2, v9, v2
	v_dual_mov_b32 v15, v7 :: v_dual_mov_b32 v14, v6
	v_dual_mov_b32 v13, v5 :: v_dual_mov_b32 v8, v0
	s_delay_alu instid0(VALU_DEP_3) | instskip(NEXT) | instid1(VALU_DEP_4)
	v_dual_mov_b32 v12, v4 :: v_dual_mov_b32 v11, v3
	v_dual_mov_b32 v10, v2 :: v_dual_mov_b32 v9, v1
.LBB24_17:                              ;   in Loop: Header=BB24_4 Depth=1
	s_delay_alu instid0(VALU_DEP_1) | instskip(NEXT) | instid1(VALU_DEP_2)
	v_dual_mov_b32 v0, v8 :: v_dual_mov_b32 v1, v9
	v_dual_mov_b32 v2, v10 :: v_dual_mov_b32 v3, v11
	s_delay_alu instid0(VALU_DEP_4)
	v_dual_mov_b32 v4, v12 :: v_dual_mov_b32 v5, v13
	v_dual_mov_b32 v6, v14 :: v_dual_mov_b32 v7, v15
	s_or_b32 exec_lo, exec_lo, s4
	s_and_saveexec_b32 s4, s2
	s_cbranch_execz .LBB24_7
.LBB24_18:                              ;   in Loop: Header=BB24_4 Depth=1
	s_and_not1_b32 vcc_lo, exec_lo, s9
	s_cbranch_vccnz .LBB24_20
; %bb.19:                               ;   in Loop: Header=BB24_4 Depth=1
	v_add_co_u32 v8, vcc_lo, s20, v34
	v_add_co_ci_u32_e32 v9, vcc_lo, s21, v35, vcc_lo
	v_add_co_u32 v11, vcc_lo, v4, 1
	v_add_co_ci_u32_e32 v12, vcc_lo, 0, v5, vcc_lo
	global_load_b64 v[8:9], v[8:9], off
	v_mov_b32_e32 v14, v6
	s_waitcnt vmcnt(0)
	v_and_b32_e32 v10, 0x7fff, v8
	v_lshrrev_b32_e32 v8, 16, v8
	s_delay_alu instid0(VALU_DEP_2) | instskip(NEXT) | instid1(VALU_DEP_2)
	v_cmp_eq_u16_e32 vcc_lo, 0, v10
	v_and_b32_e32 v8, 0x7fff, v8
	v_dual_cndmask_b32 v10, v12, v5 :: v_dual_cndmask_b32 v11, v11, v4
	s_delay_alu instid0(VALU_DEP_1) | instskip(NEXT) | instid1(VALU_DEP_2)
	v_add_co_u32 v12, vcc_lo, v11, 1
	v_add_co_ci_u32_e32 v13, vcc_lo, 0, v10, vcc_lo
	s_delay_alu instid0(VALU_DEP_4) | instskip(NEXT) | instid1(VALU_DEP_2)
	v_cmp_eq_u16_e32 vcc_lo, 0, v8
	v_cndmask_b32_e32 v8, v13, v10, vcc_lo
	s_delay_alu instid0(VALU_DEP_4) | instskip(NEXT) | instid1(VALU_DEP_1)
	v_dual_cndmask_b32 v10, v12, v11 :: v_dual_and_b32 v11, 0x7fff, v9
	v_add_co_u32 v12, vcc_lo, v10, 1
	s_delay_alu instid0(VALU_DEP_3) | instskip(NEXT) | instid1(VALU_DEP_3)
	v_add_co_ci_u32_e32 v13, vcc_lo, 0, v8, vcc_lo
	v_cmp_eq_u16_e32 vcc_lo, 0, v11
	v_lshrrev_b32_e32 v11, 16, v9
	v_mov_b32_e32 v9, v1
	s_delay_alu instid0(VALU_DEP_4) | instskip(NEXT) | instid1(VALU_DEP_3)
	v_dual_cndmask_b32 v13, v13, v8 :: v_dual_cndmask_b32 v12, v12, v10
	v_and_b32_e32 v10, 0x7fff, v11
	v_dual_mov_b32 v8, v0 :: v_dual_mov_b32 v11, v3
	s_delay_alu instid0(VALU_DEP_3) | instskip(NEXT) | instid1(VALU_DEP_4)
	v_add_co_u32 v15, vcc_lo, v12, 1
	v_add_co_ci_u32_e32 v41, vcc_lo, 0, v13, vcc_lo
	s_delay_alu instid0(VALU_DEP_4) | instskip(NEXT) | instid1(VALU_DEP_2)
	v_cmp_eq_u16_e32 vcc_lo, 0, v10
	v_dual_mov_b32 v10, v2 :: v_dual_cndmask_b32 v13, v41, v13
	s_delay_alu instid0(VALU_DEP_4)
	v_cndmask_b32_e32 v12, v15, v12, vcc_lo
	v_mov_b32_e32 v15, v7
	s_cbranch_execz .LBB24_21
	s_branch .LBB24_22
.LBB24_20:                              ;   in Loop: Header=BB24_4 Depth=1
                                        ; implicit-def: $vgpr8_vgpr9_vgpr10_vgpr11_vgpr12_vgpr13_vgpr14_vgpr15
.LBB24_21:                              ;   in Loop: Header=BB24_4 Depth=1
	v_add_co_u32 v8, vcc_lo, s20, v39
	v_add_co_ci_u32_e32 v9, vcc_lo, s21, v40, vcc_lo
	global_load_u16 v10, v[8:9], off offset:256
	v_add_co_u32 v8, vcc_lo, s20, v28
	v_add_co_ci_u32_e32 v9, vcc_lo, s21, v38, vcc_lo
	global_load_u16 v11, v[8:9], off offset:256
	;; [unrolled: 3-line block ×4, first 2 shown]
	s_waitcnt vmcnt(3)
	v_and_b32_e32 v9, 0x7fff, v10
	v_add_co_u32 v10, vcc_lo, v4, 1
	v_add_co_ci_u32_e32 v13, vcc_lo, 0, v5, vcc_lo
	s_delay_alu instid0(VALU_DEP_3) | instskip(SKIP_1) | instid1(VALU_DEP_3)
	v_cmp_eq_u16_e32 vcc_lo, 0, v9
	s_waitcnt vmcnt(2)
	v_dual_cndmask_b32 v4, v10, v4 :: v_dual_and_b32 v9, 0x7fff, v11
	s_delay_alu instid0(VALU_DEP_3) | instskip(NEXT) | instid1(VALU_DEP_2)
	v_cndmask_b32_e32 v5, v13, v5, vcc_lo
	v_add_co_u32 v10, vcc_lo, v4, 1
	s_delay_alu instid0(VALU_DEP_2) | instskip(NEXT) | instid1(VALU_DEP_4)
	v_add_co_ci_u32_e32 v11, vcc_lo, 0, v5, vcc_lo
	v_cmp_eq_u16_e32 vcc_lo, 0, v9
	s_waitcnt vmcnt(1)
	v_and_b32_e32 v9, 0x7fff, v12
	s_delay_alu instid0(VALU_DEP_3) | instskip(SKIP_2) | instid1(VALU_DEP_2)
	v_dual_cndmask_b32 v4, v10, v4 :: v_dual_cndmask_b32 v5, v11, v5
	s_waitcnt vmcnt(0)
	v_and_b32_e32 v8, 0x7fff, v8
	v_add_co_u32 v10, vcc_lo, v4, 1
	s_delay_alu instid0(VALU_DEP_3) | instskip(SKIP_1) | instid1(VALU_DEP_2)
	v_add_co_ci_u32_e32 v11, vcc_lo, 0, v5, vcc_lo
	v_cmp_eq_u16_e32 vcc_lo, 0, v9
	v_dual_cndmask_b32 v4, v10, v4 :: v_dual_cndmask_b32 v5, v11, v5
	s_delay_alu instid0(VALU_DEP_1) | instskip(NEXT) | instid1(VALU_DEP_2)
	v_add_co_u32 v9, vcc_lo, v4, 1
	v_add_co_ci_u32_e32 v10, vcc_lo, 0, v5, vcc_lo
	v_cmp_eq_u16_e32 vcc_lo, 0, v8
	s_delay_alu instid0(VALU_DEP_2) | instskip(SKIP_2) | instid1(VALU_DEP_3)
	v_dual_cndmask_b32 v4, v9, v4 :: v_dual_cndmask_b32 v5, v10, v5
	v_dual_mov_b32 v15, v7 :: v_dual_mov_b32 v14, v6
	v_dual_mov_b32 v11, v3 :: v_dual_mov_b32 v8, v0
	v_dual_mov_b32 v13, v5 :: v_dual_mov_b32 v10, v2
	s_delay_alu instid0(VALU_DEP_4)
	v_dual_mov_b32 v12, v4 :: v_dual_mov_b32 v9, v1
.LBB24_22:                              ;   in Loop: Header=BB24_4 Depth=1
	s_delay_alu instid0(VALU_DEP_1) | instskip(NEXT) | instid1(VALU_DEP_3)
	v_dual_mov_b32 v0, v8 :: v_dual_mov_b32 v1, v9
	v_dual_mov_b32 v2, v10 :: v_dual_mov_b32 v3, v11
	s_delay_alu instid0(VALU_DEP_3)
	v_dual_mov_b32 v4, v12 :: v_dual_mov_b32 v5, v13
	v_dual_mov_b32 v6, v14 :: v_dual_mov_b32 v7, v15
	s_or_b32 exec_lo, exec_lo, s4
	s_and_saveexec_b32 s4, s3
	s_cbranch_execz .LBB24_3
.LBB24_23:                              ;   in Loop: Header=BB24_4 Depth=1
	s_and_not1_b32 vcc_lo, exec_lo, s9
	s_cbranch_vccnz .LBB24_25
; %bb.24:                               ;   in Loop: Header=BB24_4 Depth=1
	v_add_co_u32 v8, vcc_lo, s20, v27
	v_add_co_ci_u32_e32 v9, vcc_lo, s21, v29, vcc_lo
	v_add_co_u32 v11, vcc_lo, v6, 1
	v_add_co_ci_u32_e32 v12, vcc_lo, 0, v7, vcc_lo
	global_load_b64 v[8:9], v[8:9], off
	s_waitcnt vmcnt(0)
	v_and_b32_e32 v10, 0x7fff, v8
	v_lshrrev_b32_e32 v8, 16, v8
	s_delay_alu instid0(VALU_DEP_2) | instskip(NEXT) | instid1(VALU_DEP_2)
	v_cmp_eq_u16_e32 vcc_lo, 0, v10
	v_dual_cndmask_b32 v11, v11, v6 :: v_dual_and_b32 v8, 0x7fff, v8
	v_cndmask_b32_e32 v10, v12, v7, vcc_lo
	s_delay_alu instid0(VALU_DEP_2) | instskip(NEXT) | instid1(VALU_DEP_2)
	v_add_co_u32 v12, vcc_lo, v11, 1
	v_add_co_ci_u32_e32 v13, vcc_lo, 0, v10, vcc_lo
	s_delay_alu instid0(VALU_DEP_4) | instskip(NEXT) | instid1(VALU_DEP_2)
	v_cmp_eq_u16_e32 vcc_lo, 0, v8
	v_cndmask_b32_e32 v8, v13, v10, vcc_lo
	s_delay_alu instid0(VALU_DEP_4) | instskip(NEXT) | instid1(VALU_DEP_1)
	v_dual_cndmask_b32 v10, v12, v11 :: v_dual_and_b32 v11, 0x7fff, v9
	v_add_co_u32 v12, vcc_lo, v10, 1
	s_delay_alu instid0(VALU_DEP_3) | instskip(NEXT) | instid1(VALU_DEP_3)
	v_add_co_ci_u32_e32 v13, vcc_lo, 0, v8, vcc_lo
	v_cmp_eq_u16_e32 vcc_lo, 0, v11
	v_lshrrev_b32_e32 v11, 16, v9
	s_delay_alu instid0(VALU_DEP_4) | instskip(NEXT) | instid1(VALU_DEP_2)
	v_dual_mov_b32 v9, v1 :: v_dual_cndmask_b32 v14, v12, v10
	v_dual_mov_b32 v11, v3 :: v_dual_and_b32 v10, 0x7fff, v11
	v_dual_cndmask_b32 v13, v13, v8 :: v_dual_mov_b32 v8, v0
	s_delay_alu instid0(VALU_DEP_3) | instskip(SKIP_1) | instid1(VALU_DEP_3)
	v_add_co_u32 v41, vcc_lo, v14, 1
	v_mov_b32_e32 v12, v4
	v_add_co_ci_u32_e32 v15, vcc_lo, 0, v13, vcc_lo
	v_cmp_eq_u16_e32 vcc_lo, 0, v10
	s_delay_alu instid0(VALU_DEP_2)
	v_dual_mov_b32 v10, v2 :: v_dual_cndmask_b32 v15, v15, v13
	v_mov_b32_e32 v13, v5
	v_cndmask_b32_e32 v14, v41, v14, vcc_lo
	s_cbranch_execnz .LBB24_2
	s_branch .LBB24_26
.LBB24_25:                              ;   in Loop: Header=BB24_4 Depth=1
                                        ; implicit-def: $vgpr8_vgpr9_vgpr10_vgpr11_vgpr12_vgpr13_vgpr14_vgpr15
.LBB24_26:                              ;   in Loop: Header=BB24_4 Depth=1
	v_add_co_u32 v8, vcc_lo, s20, v39
	v_add_co_ci_u32_e32 v9, vcc_lo, s21, v40, vcc_lo
	global_load_u16 v10, v[8:9], off offset:384
	v_add_co_u32 v8, vcc_lo, s20, v28
	v_add_co_ci_u32_e32 v9, vcc_lo, s21, v38, vcc_lo
	global_load_u16 v11, v[8:9], off offset:384
	;; [unrolled: 3-line block ×4, first 2 shown]
	s_waitcnt vmcnt(3)
	v_and_b32_e32 v9, 0x7fff, v10
	v_add_co_u32 v10, vcc_lo, v6, 1
	v_add_co_ci_u32_e32 v13, vcc_lo, 0, v7, vcc_lo
	s_delay_alu instid0(VALU_DEP_3) | instskip(NEXT) | instid1(VALU_DEP_2)
	v_cmp_eq_u16_e32 vcc_lo, 0, v9
	v_dual_cndmask_b32 v7, v13, v7 :: v_dual_cndmask_b32 v6, v10, v6
	s_delay_alu instid0(VALU_DEP_1) | instskip(SKIP_2) | instid1(VALU_DEP_3)
	v_add_co_u32 v10, vcc_lo, v6, 1
	s_waitcnt vmcnt(2)
	v_and_b32_e32 v9, 0x7fff, v11
	v_add_co_ci_u32_e32 v11, vcc_lo, 0, v7, vcc_lo
	s_delay_alu instid0(VALU_DEP_2)
	v_cmp_eq_u16_e32 vcc_lo, 0, v9
	s_waitcnt vmcnt(1)
	v_and_b32_e32 v9, 0x7fff, v12
	s_waitcnt vmcnt(0)
	v_and_b32_e32 v8, 0x7fff, v8
	v_dual_cndmask_b32 v6, v10, v6 :: v_dual_cndmask_b32 v7, v11, v7
	s_delay_alu instid0(VALU_DEP_1) | instskip(NEXT) | instid1(VALU_DEP_2)
	v_add_co_u32 v10, vcc_lo, v6, 1
	v_add_co_ci_u32_e32 v11, vcc_lo, 0, v7, vcc_lo
	v_cmp_eq_u16_e32 vcc_lo, 0, v9
	s_delay_alu instid0(VALU_DEP_2) | instskip(NEXT) | instid1(VALU_DEP_1)
	v_dual_cndmask_b32 v6, v10, v6 :: v_dual_cndmask_b32 v7, v11, v7
	v_add_co_u32 v9, vcc_lo, v6, 1
	s_delay_alu instid0(VALU_DEP_2) | instskip(SKIP_1) | instid1(VALU_DEP_2)
	v_add_co_ci_u32_e32 v10, vcc_lo, 0, v7, vcc_lo
	v_cmp_eq_u16_e32 vcc_lo, 0, v8
	v_dual_cndmask_b32 v7, v10, v7 :: v_dual_cndmask_b32 v6, v9, v6
	s_delay_alu instid0(VALU_DEP_1) | instskip(NEXT) | instid1(VALU_DEP_2)
	v_dual_mov_b32 v15, v7 :: v_dual_mov_b32 v10, v2
	v_dual_mov_b32 v14, v6 :: v_dual_mov_b32 v13, v5
	v_mov_b32_e32 v8, v0
	v_dual_mov_b32 v12, v4 :: v_dual_mov_b32 v11, v3
	v_mov_b32_e32 v9, v1
	s_branch .LBB24_2
.LBB24_27:
	s_or_b32 exec_lo, exec_lo, s8
.LBB24_28:
	s_delay_alu instid0(SALU_CYCLE_1) | instskip(SKIP_1) | instid1(VALU_DEP_1)
	s_or_b32 exec_lo, exec_lo, s29
	v_cmp_lt_i64_e64 s0, s[24:25], 1
	s_and_b32 vcc_lo, exec_lo, s0
	s_cbranch_vccnz .LBB24_126
; %bb.29:
	v_lshlrev_b64 v[8:9], 1, v[16:17]
	s_cmp_eq_u32 s28, 1
	s_mov_b32 s3, exec_lo
	s_cselect_b32 s2, -1, 0
	s_cmp_lg_u32 s28, 1
	s_cselect_b32 s1, -1, 0
	v_add_co_u32 v26, s0, s20, v8
	s_delay_alu instid0(VALU_DEP_1)
	v_add_co_ci_u32_e64 v27, s0, s21, v9, s0
	v_lshlrev_b64 v[8:9], 1, v[18:19]
	v_cmpx_gt_i64_e64 s[16:17], v[18:19]
	s_cbranch_execz .LBB24_53
; %bb.30:
	v_mad_u64_u32 v[10:11], null, v18, s22, 0
	s_delay_alu instid0(VALU_DEP_1) | instskip(NEXT) | instid1(VALU_DEP_1)
	v_mad_u64_u32 v[12:13], null, v18, s23, v[11:12]
	v_mov_b32_e32 v11, v12
	s_delay_alu instid0(VALU_DEP_1) | instskip(NEXT) | instid1(VALU_DEP_1)
	v_lshlrev_b64 v[10:11], 1, v[10:11]
	v_add_co_u32 v10, s0, v26, v10
	s_delay_alu instid0(VALU_DEP_1) | instskip(SKIP_1) | instid1(VALU_DEP_1)
	v_add_co_ci_u32_e64 v11, s0, v27, v11, s0
	v_add_co_u32 v18, s0, s20, v8
	v_add_co_ci_u32_e64 v21, s0, s21, v9, s0
	s_mov_b32 s0, exec_lo
	v_cmpx_gt_i64_e64 s[18:19], v[16:17]
	s_cbranch_execz .LBB24_34
; %bb.31:
	v_dual_mov_b32 v13, v11 :: v_dual_mov_b32 v12, v10
	s_and_not1_b32 vcc_lo, exec_lo, s2
	s_cbranch_vccnz .LBB24_33
; %bb.32:
	v_mul_lo_u32 v14, v17, s22
	v_mul_lo_u32 v15, v16, s23
	v_mad_u64_u32 v[12:13], null, v16, s22, 0
	s_delay_alu instid0(VALU_DEP_1) | instskip(NEXT) | instid1(VALU_DEP_1)
	v_add3_u32 v13, v13, v15, v14
	v_lshlrev_b64 v[12:13], 1, v[12:13]
	s_delay_alu instid0(VALU_DEP_1) | instskip(NEXT) | instid1(VALU_DEP_2)
	v_add_co_u32 v12, vcc_lo, v18, v12
	v_add_co_ci_u32_e32 v13, vcc_lo, v21, v13, vcc_lo
.LBB24_33:
	global_load_u16 v12, v[12:13], off
	s_waitcnt vmcnt(0)
	v_and_b32_e32 v12, 0x7fff, v12
	s_delay_alu instid0(VALU_DEP_1) | instskip(SKIP_1) | instid1(VALU_DEP_1)
	v_cmp_ne_u16_e32 vcc_lo, 0, v12
	v_cndmask_b32_e64 v12, 0, 1, vcc_lo
	v_add_co_u32 v0, vcc_lo, v0, v12
	v_add_co_ci_u32_e32 v1, vcc_lo, 0, v1, vcc_lo
.LBB24_34:
	s_or_b32 exec_lo, exec_lo, s0
	v_or_b32_e32 v12, 1, v16
	v_mov_b32_e32 v13, v17
	s_mov_b32 s0, exec_lo
	s_delay_alu instid0(VALU_DEP_1)
	v_cmpx_gt_i64_e64 s[18:19], v[12:13]
	s_cbranch_execz .LBB24_40
; %bb.35:
	s_and_not1_b32 vcc_lo, exec_lo, s1
	s_cbranch_vccnz .LBB24_37
; %bb.36:
	v_add_co_u32 v14, vcc_lo, v10, 2
	v_add_co_ci_u32_e32 v15, vcc_lo, 0, v11, vcc_lo
	s_cbranch_execz .LBB24_38
	s_branch .LBB24_39
.LBB24_37:
                                        ; implicit-def: $vgpr14_vgpr15
.LBB24_38:
	v_mul_lo_u32 v15, v13, s22
	v_mul_lo_u32 v23, v12, s23
	v_mad_u64_u32 v[13:14], null, v12, s22, 0
	s_delay_alu instid0(VALU_DEP_1) | instskip(NEXT) | instid1(VALU_DEP_1)
	v_add3_u32 v14, v14, v23, v15
	v_lshlrev_b64 v[12:13], 1, v[13:14]
	s_delay_alu instid0(VALU_DEP_1) | instskip(NEXT) | instid1(VALU_DEP_2)
	v_add_co_u32 v14, vcc_lo, v18, v12
	v_add_co_ci_u32_e32 v15, vcc_lo, v21, v13, vcc_lo
.LBB24_39:
	global_load_u16 v12, v[14:15], off
	s_waitcnt vmcnt(0)
	v_and_b32_e32 v12, 0x7fff, v12
	s_delay_alu instid0(VALU_DEP_1) | instskip(SKIP_1) | instid1(VALU_DEP_1)
	v_cmp_ne_u16_e32 vcc_lo, 0, v12
	v_cndmask_b32_e64 v12, 0, 1, vcc_lo
	v_add_co_u32 v0, vcc_lo, v0, v12
	v_add_co_ci_u32_e32 v1, vcc_lo, 0, v1, vcc_lo
.LBB24_40:
	s_or_b32 exec_lo, exec_lo, s0
	v_or_b32_e32 v12, 2, v16
	v_mov_b32_e32 v13, v17
	s_mov_b32 s0, exec_lo
	s_delay_alu instid0(VALU_DEP_1)
	v_cmpx_gt_i64_e64 s[18:19], v[12:13]
	s_cbranch_execz .LBB24_46
; %bb.41:
	s_and_not1_b32 vcc_lo, exec_lo, s1
	s_cbranch_vccnz .LBB24_43
; %bb.42:
	v_add_co_u32 v14, vcc_lo, v10, 4
	v_add_co_ci_u32_e32 v15, vcc_lo, 0, v11, vcc_lo
	s_cbranch_execz .LBB24_44
	s_branch .LBB24_45
.LBB24_43:
                                        ; implicit-def: $vgpr14_vgpr15
.LBB24_44:
	v_mul_lo_u32 v15, v13, s22
	v_mul_lo_u32 v23, v12, s23
	v_mad_u64_u32 v[13:14], null, v12, s22, 0
	s_delay_alu instid0(VALU_DEP_1) | instskip(NEXT) | instid1(VALU_DEP_1)
	v_add3_u32 v14, v14, v23, v15
	v_lshlrev_b64 v[12:13], 1, v[13:14]
	s_delay_alu instid0(VALU_DEP_1) | instskip(NEXT) | instid1(VALU_DEP_2)
	v_add_co_u32 v14, vcc_lo, v18, v12
	v_add_co_ci_u32_e32 v15, vcc_lo, v21, v13, vcc_lo
.LBB24_45:
	global_load_u16 v12, v[14:15], off
	s_waitcnt vmcnt(0)
	v_and_b32_e32 v12, 0x7fff, v12
	s_delay_alu instid0(VALU_DEP_1) | instskip(SKIP_1) | instid1(VALU_DEP_1)
	v_cmp_ne_u16_e32 vcc_lo, 0, v12
	v_cndmask_b32_e64 v12, 0, 1, vcc_lo
	v_add_co_u32 v0, vcc_lo, v0, v12
	v_add_co_ci_u32_e32 v1, vcc_lo, 0, v1, vcc_lo
.LBB24_46:
	s_or_b32 exec_lo, exec_lo, s0
	v_or_b32_e32 v12, 3, v16
	v_mov_b32_e32 v13, v17
	s_mov_b32 s0, exec_lo
	s_delay_alu instid0(VALU_DEP_1)
	v_cmpx_gt_i64_e64 s[18:19], v[12:13]
	s_cbranch_execz .LBB24_52
; %bb.47:
	s_and_not1_b32 vcc_lo, exec_lo, s1
	s_cbranch_vccnz .LBB24_49
; %bb.48:
	v_add_co_u32 v10, vcc_lo, v10, 6
	v_add_co_ci_u32_e32 v11, vcc_lo, 0, v11, vcc_lo
	s_cbranch_execz .LBB24_50
	s_branch .LBB24_51
.LBB24_49:
                                        ; implicit-def: $vgpr10_vgpr11
.LBB24_50:
	v_mul_lo_u32 v13, v13, s22
	v_mul_lo_u32 v14, v12, s23
	v_mad_u64_u32 v[10:11], null, v12, s22, 0
	s_delay_alu instid0(VALU_DEP_1) | instskip(NEXT) | instid1(VALU_DEP_1)
	v_add3_u32 v11, v11, v14, v13
	v_lshlrev_b64 v[10:11], 1, v[10:11]
	s_delay_alu instid0(VALU_DEP_1) | instskip(NEXT) | instid1(VALU_DEP_2)
	v_add_co_u32 v10, vcc_lo, v18, v10
	v_add_co_ci_u32_e32 v11, vcc_lo, v21, v11, vcc_lo
.LBB24_51:
	global_load_u16 v10, v[10:11], off
	s_waitcnt vmcnt(0)
	v_and_b32_e32 v10, 0x7fff, v10
	s_delay_alu instid0(VALU_DEP_1) | instskip(SKIP_1) | instid1(VALU_DEP_1)
	v_cmp_ne_u16_e32 vcc_lo, 0, v10
	v_cndmask_b32_e64 v10, 0, 1, vcc_lo
	v_add_co_u32 v0, vcc_lo, v0, v10
	v_add_co_ci_u32_e32 v1, vcc_lo, 0, v1, vcc_lo
.LBB24_52:
	s_or_b32 exec_lo, exec_lo, s0
.LBB24_53:
	s_delay_alu instid0(SALU_CYCLE_1) | instskip(SKIP_2) | instid1(VALU_DEP_1)
	s_or_b32 exec_lo, exec_lo, s3
	v_mov_b32_e32 v25, v19
	s_mov_b32 s3, exec_lo
	v_cmpx_gt_i64_e64 s[16:17], v[24:25]
	s_cbranch_execz .LBB24_77
; %bb.54:
	v_mad_u64_u32 v[10:11], null, v24, s22, 0
	s_delay_alu instid0(VALU_DEP_1) | instskip(NEXT) | instid1(VALU_DEP_1)
	v_mad_u64_u32 v[12:13], null, v24, s23, v[11:12]
	v_mov_b32_e32 v11, v12
	s_delay_alu instid0(VALU_DEP_1) | instskip(NEXT) | instid1(VALU_DEP_1)
	v_lshlrev_b64 v[10:11], 1, v[10:11]
	v_add_co_u32 v10, s0, v26, v10
	s_delay_alu instid0(VALU_DEP_1) | instskip(SKIP_1) | instid1(VALU_DEP_1)
	v_add_co_ci_u32_e64 v11, s0, v27, v11, s0
	v_add_co_u32 v18, s0, s20, v8
	v_add_co_ci_u32_e64 v21, s0, s21, v9, s0
	s_mov_b32 s0, exec_lo
	v_cmpx_gt_i64_e64 s[18:19], v[16:17]
	s_cbranch_execz .LBB24_58
; %bb.55:
	v_dual_mov_b32 v13, v11 :: v_dual_mov_b32 v12, v10
	s_and_not1_b32 vcc_lo, exec_lo, s2
	s_cbranch_vccnz .LBB24_57
; %bb.56:
	v_mul_lo_u32 v14, v17, s22
	v_mul_lo_u32 v15, v16, s23
	v_mad_u64_u32 v[12:13], null, v16, s22, 0
	s_delay_alu instid0(VALU_DEP_1) | instskip(NEXT) | instid1(VALU_DEP_1)
	v_add3_u32 v13, v13, v15, v14
	v_lshlrev_b64 v[12:13], 1, v[12:13]
	s_delay_alu instid0(VALU_DEP_1) | instskip(NEXT) | instid1(VALU_DEP_2)
	v_add_co_u32 v12, vcc_lo, v18, v12
	v_add_co_ci_u32_e32 v13, vcc_lo, v21, v13, vcc_lo
	s_delay_alu instid0(VALU_DEP_2) | instskip(NEXT) | instid1(VALU_DEP_2)
	v_add_co_u32 v12, vcc_lo, 0x80, v12
	v_add_co_ci_u32_e32 v13, vcc_lo, 0, v13, vcc_lo
.LBB24_57:
	global_load_u16 v12, v[12:13], off
	s_waitcnt vmcnt(0)
	v_and_b32_e32 v12, 0x7fff, v12
	s_delay_alu instid0(VALU_DEP_1) | instskip(SKIP_1) | instid1(VALU_DEP_1)
	v_cmp_ne_u16_e32 vcc_lo, 0, v12
	v_cndmask_b32_e64 v12, 0, 1, vcc_lo
	v_add_co_u32 v2, vcc_lo, v2, v12
	v_add_co_ci_u32_e32 v3, vcc_lo, 0, v3, vcc_lo
.LBB24_58:
	s_or_b32 exec_lo, exec_lo, s0
	v_or_b32_e32 v12, 1, v16
	v_mov_b32_e32 v13, v17
	s_mov_b32 s0, exec_lo
	s_delay_alu instid0(VALU_DEP_1)
	v_cmpx_gt_i64_e64 s[18:19], v[12:13]
	s_cbranch_execz .LBB24_64
; %bb.59:
	s_and_not1_b32 vcc_lo, exec_lo, s1
	s_cbranch_vccnz .LBB24_61
; %bb.60:
	v_add_co_u32 v14, vcc_lo, v10, 2
	v_add_co_ci_u32_e32 v15, vcc_lo, 0, v11, vcc_lo
	s_cbranch_execz .LBB24_62
	s_branch .LBB24_63
.LBB24_61:
                                        ; implicit-def: $vgpr14_vgpr15
.LBB24_62:
	v_mul_lo_u32 v15, v13, s22
	v_mul_lo_u32 v23, v12, s23
	v_mad_u64_u32 v[13:14], null, v12, s22, 0
	s_delay_alu instid0(VALU_DEP_1) | instskip(NEXT) | instid1(VALU_DEP_1)
	v_add3_u32 v14, v14, v23, v15
	v_lshlrev_b64 v[12:13], 1, v[13:14]
	s_delay_alu instid0(VALU_DEP_1) | instskip(NEXT) | instid1(VALU_DEP_2)
	v_add_co_u32 v12, vcc_lo, v18, v12
	v_add_co_ci_u32_e32 v13, vcc_lo, v21, v13, vcc_lo
	s_delay_alu instid0(VALU_DEP_2) | instskip(NEXT) | instid1(VALU_DEP_2)
	v_add_co_u32 v14, vcc_lo, 0x80, v12
	v_add_co_ci_u32_e32 v15, vcc_lo, 0, v13, vcc_lo
.LBB24_63:
	global_load_u16 v12, v[14:15], off
	s_waitcnt vmcnt(0)
	v_and_b32_e32 v12, 0x7fff, v12
	s_delay_alu instid0(VALU_DEP_1) | instskip(SKIP_1) | instid1(VALU_DEP_1)
	v_cmp_ne_u16_e32 vcc_lo, 0, v12
	v_cndmask_b32_e64 v12, 0, 1, vcc_lo
	v_add_co_u32 v2, vcc_lo, v2, v12
	v_add_co_ci_u32_e32 v3, vcc_lo, 0, v3, vcc_lo
.LBB24_64:
	s_or_b32 exec_lo, exec_lo, s0
	v_or_b32_e32 v12, 2, v16
	v_mov_b32_e32 v13, v17
	s_mov_b32 s0, exec_lo
	s_delay_alu instid0(VALU_DEP_1)
	v_cmpx_gt_i64_e64 s[18:19], v[12:13]
	s_cbranch_execz .LBB24_70
; %bb.65:
	s_and_not1_b32 vcc_lo, exec_lo, s1
	s_cbranch_vccnz .LBB24_67
; %bb.66:
	v_add_co_u32 v14, vcc_lo, v10, 4
	v_add_co_ci_u32_e32 v15, vcc_lo, 0, v11, vcc_lo
	s_cbranch_execz .LBB24_68
	s_branch .LBB24_69
.LBB24_67:
                                        ; implicit-def: $vgpr14_vgpr15
.LBB24_68:
	v_mul_lo_u32 v15, v13, s22
	v_mul_lo_u32 v23, v12, s23
	v_mad_u64_u32 v[13:14], null, v12, s22, 0
	s_delay_alu instid0(VALU_DEP_1) | instskip(NEXT) | instid1(VALU_DEP_1)
	v_add3_u32 v14, v14, v23, v15
	v_lshlrev_b64 v[12:13], 1, v[13:14]
	s_delay_alu instid0(VALU_DEP_1) | instskip(NEXT) | instid1(VALU_DEP_2)
	v_add_co_u32 v12, vcc_lo, v18, v12
	v_add_co_ci_u32_e32 v13, vcc_lo, v21, v13, vcc_lo
	s_delay_alu instid0(VALU_DEP_2) | instskip(NEXT) | instid1(VALU_DEP_2)
	v_add_co_u32 v14, vcc_lo, 0x80, v12
	v_add_co_ci_u32_e32 v15, vcc_lo, 0, v13, vcc_lo
.LBB24_69:
	global_load_u16 v12, v[14:15], off
	s_waitcnt vmcnt(0)
	v_and_b32_e32 v12, 0x7fff, v12
	s_delay_alu instid0(VALU_DEP_1) | instskip(SKIP_1) | instid1(VALU_DEP_1)
	v_cmp_ne_u16_e32 vcc_lo, 0, v12
	v_cndmask_b32_e64 v12, 0, 1, vcc_lo
	v_add_co_u32 v2, vcc_lo, v2, v12
	v_add_co_ci_u32_e32 v3, vcc_lo, 0, v3, vcc_lo
.LBB24_70:
	s_or_b32 exec_lo, exec_lo, s0
	v_or_b32_e32 v12, 3, v16
	v_mov_b32_e32 v13, v17
	s_mov_b32 s0, exec_lo
	s_delay_alu instid0(VALU_DEP_1)
	v_cmpx_gt_i64_e64 s[18:19], v[12:13]
	s_cbranch_execz .LBB24_76
; %bb.71:
	s_and_not1_b32 vcc_lo, exec_lo, s1
	s_cbranch_vccnz .LBB24_73
; %bb.72:
	v_add_co_u32 v10, vcc_lo, v10, 6
	v_add_co_ci_u32_e32 v11, vcc_lo, 0, v11, vcc_lo
	s_cbranch_execz .LBB24_74
	s_branch .LBB24_75
.LBB24_73:
                                        ; implicit-def: $vgpr10_vgpr11
.LBB24_74:
	v_mul_lo_u32 v13, v13, s22
	v_mul_lo_u32 v14, v12, s23
	v_mad_u64_u32 v[10:11], null, v12, s22, 0
	s_delay_alu instid0(VALU_DEP_1) | instskip(NEXT) | instid1(VALU_DEP_1)
	v_add3_u32 v11, v11, v14, v13
	v_lshlrev_b64 v[10:11], 1, v[10:11]
	s_delay_alu instid0(VALU_DEP_1) | instskip(NEXT) | instid1(VALU_DEP_2)
	v_add_co_u32 v10, vcc_lo, v18, v10
	v_add_co_ci_u32_e32 v11, vcc_lo, v21, v11, vcc_lo
	s_delay_alu instid0(VALU_DEP_2) | instskip(NEXT) | instid1(VALU_DEP_2)
	v_add_co_u32 v10, vcc_lo, 0x80, v10
	v_add_co_ci_u32_e32 v11, vcc_lo, 0, v11, vcc_lo
.LBB24_75:
	global_load_u16 v10, v[10:11], off
	s_waitcnt vmcnt(0)
	v_and_b32_e32 v10, 0x7fff, v10
	s_delay_alu instid0(VALU_DEP_1) | instskip(SKIP_1) | instid1(VALU_DEP_1)
	v_cmp_ne_u16_e32 vcc_lo, 0, v10
	v_cndmask_b32_e64 v10, 0, 1, vcc_lo
	v_add_co_u32 v2, vcc_lo, v2, v10
	v_add_co_ci_u32_e32 v3, vcc_lo, 0, v3, vcc_lo
.LBB24_76:
	s_or_b32 exec_lo, exec_lo, s0
.LBB24_77:
	s_delay_alu instid0(SALU_CYCLE_1) | instskip(SKIP_2) | instid1(VALU_DEP_1)
	s_or_b32 exec_lo, exec_lo, s3
	v_mov_b32_e32 v23, v19
	s_mov_b32 s3, exec_lo
	v_cmpx_gt_i64_e64 s[16:17], v[22:23]
	s_cbranch_execz .LBB24_101
; %bb.78:
	v_mad_u64_u32 v[10:11], null, v22, s22, 0
	s_delay_alu instid0(VALU_DEP_1) | instskip(NEXT) | instid1(VALU_DEP_1)
	v_mad_u64_u32 v[12:13], null, v22, s23, v[11:12]
	v_mov_b32_e32 v11, v12
	s_delay_alu instid0(VALU_DEP_1) | instskip(NEXT) | instid1(VALU_DEP_1)
	v_lshlrev_b64 v[10:11], 1, v[10:11]
	v_add_co_u32 v10, s0, v26, v10
	s_delay_alu instid0(VALU_DEP_1) | instskip(SKIP_1) | instid1(VALU_DEP_1)
	v_add_co_ci_u32_e64 v11, s0, v27, v11, s0
	v_add_co_u32 v18, s0, s20, v8
	v_add_co_ci_u32_e64 v21, s0, s21, v9, s0
	s_mov_b32 s0, exec_lo
	v_cmpx_gt_i64_e64 s[18:19], v[16:17]
	s_cbranch_execz .LBB24_82
; %bb.79:
	v_dual_mov_b32 v13, v11 :: v_dual_mov_b32 v12, v10
	s_and_not1_b32 vcc_lo, exec_lo, s2
	s_cbranch_vccnz .LBB24_81
; %bb.80:
	v_mul_lo_u32 v14, v17, s22
	v_mul_lo_u32 v15, v16, s23
	v_mad_u64_u32 v[12:13], null, v16, s22, 0
	s_delay_alu instid0(VALU_DEP_1) | instskip(NEXT) | instid1(VALU_DEP_1)
	v_add3_u32 v13, v13, v15, v14
	v_lshlrev_b64 v[12:13], 1, v[12:13]
	s_delay_alu instid0(VALU_DEP_1) | instskip(NEXT) | instid1(VALU_DEP_2)
	v_add_co_u32 v12, vcc_lo, v18, v12
	v_add_co_ci_u32_e32 v13, vcc_lo, v21, v13, vcc_lo
	s_delay_alu instid0(VALU_DEP_2) | instskip(NEXT) | instid1(VALU_DEP_2)
	v_add_co_u32 v12, vcc_lo, 0x100, v12
	v_add_co_ci_u32_e32 v13, vcc_lo, 0, v13, vcc_lo
.LBB24_81:
	global_load_u16 v12, v[12:13], off
	s_waitcnt vmcnt(0)
	v_and_b32_e32 v12, 0x7fff, v12
	s_delay_alu instid0(VALU_DEP_1) | instskip(SKIP_1) | instid1(VALU_DEP_1)
	v_cmp_ne_u16_e32 vcc_lo, 0, v12
	v_cndmask_b32_e64 v12, 0, 1, vcc_lo
	v_add_co_u32 v4, vcc_lo, v4, v12
	v_add_co_ci_u32_e32 v5, vcc_lo, 0, v5, vcc_lo
.LBB24_82:
	s_or_b32 exec_lo, exec_lo, s0
	v_or_b32_e32 v12, 1, v16
	v_mov_b32_e32 v13, v17
	s_mov_b32 s0, exec_lo
	s_delay_alu instid0(VALU_DEP_1)
	v_cmpx_gt_i64_e64 s[18:19], v[12:13]
	s_cbranch_execz .LBB24_88
; %bb.83:
	s_and_not1_b32 vcc_lo, exec_lo, s1
	s_cbranch_vccnz .LBB24_85
; %bb.84:
	v_add_co_u32 v14, vcc_lo, v10, 2
	v_add_co_ci_u32_e32 v15, vcc_lo, 0, v11, vcc_lo
	s_cbranch_execz .LBB24_86
	s_branch .LBB24_87
.LBB24_85:
                                        ; implicit-def: $vgpr14_vgpr15
.LBB24_86:
	v_mul_lo_u32 v15, v13, s22
	v_mul_lo_u32 v22, v12, s23
	v_mad_u64_u32 v[13:14], null, v12, s22, 0
	s_delay_alu instid0(VALU_DEP_1) | instskip(NEXT) | instid1(VALU_DEP_1)
	v_add3_u32 v14, v14, v22, v15
	v_lshlrev_b64 v[12:13], 1, v[13:14]
	s_delay_alu instid0(VALU_DEP_1) | instskip(NEXT) | instid1(VALU_DEP_2)
	v_add_co_u32 v12, vcc_lo, v18, v12
	v_add_co_ci_u32_e32 v13, vcc_lo, v21, v13, vcc_lo
	s_delay_alu instid0(VALU_DEP_2) | instskip(NEXT) | instid1(VALU_DEP_2)
	v_add_co_u32 v14, vcc_lo, 0x100, v12
	v_add_co_ci_u32_e32 v15, vcc_lo, 0, v13, vcc_lo
.LBB24_87:
	global_load_u16 v12, v[14:15], off
	s_waitcnt vmcnt(0)
	v_and_b32_e32 v12, 0x7fff, v12
	s_delay_alu instid0(VALU_DEP_1) | instskip(SKIP_1) | instid1(VALU_DEP_1)
	v_cmp_ne_u16_e32 vcc_lo, 0, v12
	v_cndmask_b32_e64 v12, 0, 1, vcc_lo
	v_add_co_u32 v4, vcc_lo, v4, v12
	v_add_co_ci_u32_e32 v5, vcc_lo, 0, v5, vcc_lo
.LBB24_88:
	s_or_b32 exec_lo, exec_lo, s0
	v_or_b32_e32 v12, 2, v16
	v_mov_b32_e32 v13, v17
	s_mov_b32 s0, exec_lo
	s_delay_alu instid0(VALU_DEP_1)
	v_cmpx_gt_i64_e64 s[18:19], v[12:13]
	s_cbranch_execz .LBB24_94
; %bb.89:
	s_and_not1_b32 vcc_lo, exec_lo, s1
	s_cbranch_vccnz .LBB24_91
; %bb.90:
	v_add_co_u32 v14, vcc_lo, v10, 4
	v_add_co_ci_u32_e32 v15, vcc_lo, 0, v11, vcc_lo
	s_cbranch_execz .LBB24_92
	s_branch .LBB24_93
.LBB24_91:
                                        ; implicit-def: $vgpr14_vgpr15
.LBB24_92:
	v_mul_lo_u32 v15, v13, s22
	v_mul_lo_u32 v22, v12, s23
	v_mad_u64_u32 v[13:14], null, v12, s22, 0
	s_delay_alu instid0(VALU_DEP_1) | instskip(NEXT) | instid1(VALU_DEP_1)
	v_add3_u32 v14, v14, v22, v15
	v_lshlrev_b64 v[12:13], 1, v[13:14]
	s_delay_alu instid0(VALU_DEP_1) | instskip(NEXT) | instid1(VALU_DEP_2)
	v_add_co_u32 v12, vcc_lo, v18, v12
	v_add_co_ci_u32_e32 v13, vcc_lo, v21, v13, vcc_lo
	s_delay_alu instid0(VALU_DEP_2) | instskip(NEXT) | instid1(VALU_DEP_2)
	v_add_co_u32 v14, vcc_lo, 0x100, v12
	v_add_co_ci_u32_e32 v15, vcc_lo, 0, v13, vcc_lo
.LBB24_93:
	global_load_u16 v12, v[14:15], off
	s_waitcnt vmcnt(0)
	v_and_b32_e32 v12, 0x7fff, v12
	s_delay_alu instid0(VALU_DEP_1) | instskip(SKIP_1) | instid1(VALU_DEP_1)
	v_cmp_ne_u16_e32 vcc_lo, 0, v12
	v_cndmask_b32_e64 v12, 0, 1, vcc_lo
	v_add_co_u32 v4, vcc_lo, v4, v12
	v_add_co_ci_u32_e32 v5, vcc_lo, 0, v5, vcc_lo
.LBB24_94:
	s_or_b32 exec_lo, exec_lo, s0
	v_or_b32_e32 v12, 3, v16
	v_mov_b32_e32 v13, v17
	s_mov_b32 s0, exec_lo
	s_delay_alu instid0(VALU_DEP_1)
	v_cmpx_gt_i64_e64 s[18:19], v[12:13]
	s_cbranch_execz .LBB24_100
; %bb.95:
	s_and_not1_b32 vcc_lo, exec_lo, s1
	s_cbranch_vccnz .LBB24_97
; %bb.96:
	v_add_co_u32 v10, vcc_lo, v10, 6
	v_add_co_ci_u32_e32 v11, vcc_lo, 0, v11, vcc_lo
	s_cbranch_execz .LBB24_98
	s_branch .LBB24_99
.LBB24_97:
                                        ; implicit-def: $vgpr10_vgpr11
.LBB24_98:
	v_mul_lo_u32 v13, v13, s22
	v_mul_lo_u32 v14, v12, s23
	v_mad_u64_u32 v[10:11], null, v12, s22, 0
	s_delay_alu instid0(VALU_DEP_1) | instskip(NEXT) | instid1(VALU_DEP_1)
	v_add3_u32 v11, v11, v14, v13
	v_lshlrev_b64 v[10:11], 1, v[10:11]
	s_delay_alu instid0(VALU_DEP_1) | instskip(NEXT) | instid1(VALU_DEP_2)
	v_add_co_u32 v10, vcc_lo, v18, v10
	v_add_co_ci_u32_e32 v11, vcc_lo, v21, v11, vcc_lo
	s_delay_alu instid0(VALU_DEP_2) | instskip(NEXT) | instid1(VALU_DEP_2)
	v_add_co_u32 v10, vcc_lo, 0x100, v10
	v_add_co_ci_u32_e32 v11, vcc_lo, 0, v11, vcc_lo
.LBB24_99:
	global_load_u16 v10, v[10:11], off
	s_waitcnt vmcnt(0)
	v_and_b32_e32 v10, 0x7fff, v10
	s_delay_alu instid0(VALU_DEP_1) | instskip(SKIP_1) | instid1(VALU_DEP_1)
	v_cmp_ne_u16_e32 vcc_lo, 0, v10
	v_cndmask_b32_e64 v10, 0, 1, vcc_lo
	v_add_co_u32 v4, vcc_lo, v4, v10
	v_add_co_ci_u32_e32 v5, vcc_lo, 0, v5, vcc_lo
.LBB24_100:
	s_or_b32 exec_lo, exec_lo, s0
.LBB24_101:
	s_delay_alu instid0(SALU_CYCLE_1) | instskip(SKIP_2) | instid1(VALU_DEP_1)
	s_or_b32 exec_lo, exec_lo, s3
	v_mov_b32_e32 v21, v19
	s_mov_b32 s3, exec_lo
	v_cmpx_gt_i64_e64 s[16:17], v[20:21]
	s_cbranch_execz .LBB24_125
; %bb.102:
	v_mad_u64_u32 v[10:11], null, v20, s22, 0
	s_delay_alu instid0(VALU_DEP_1) | instskip(NEXT) | instid1(VALU_DEP_1)
	v_mad_u64_u32 v[12:13], null, v20, s23, v[11:12]
	v_mov_b32_e32 v11, v12
	s_delay_alu instid0(VALU_DEP_1) | instskip(NEXT) | instid1(VALU_DEP_1)
	v_lshlrev_b64 v[10:11], 1, v[10:11]
	v_add_co_u32 v10, s0, v26, v10
	s_delay_alu instid0(VALU_DEP_1) | instskip(SKIP_1) | instid1(VALU_DEP_1)
	v_add_co_ci_u32_e64 v11, s0, v27, v11, s0
	v_add_co_u32 v14, s0, s20, v8
	v_add_co_ci_u32_e64 v15, s0, s21, v9, s0
	s_mov_b32 s0, exec_lo
	v_cmpx_gt_i64_e64 s[18:19], v[16:17]
	s_cbranch_execz .LBB24_106
; %bb.103:
	v_dual_mov_b32 v8, v10 :: v_dual_mov_b32 v9, v11
	s_and_not1_b32 vcc_lo, exec_lo, s2
	s_cbranch_vccnz .LBB24_105
; %bb.104:
	v_mul_lo_u32 v12, v17, s22
	v_mul_lo_u32 v13, v16, s23
	v_mad_u64_u32 v[8:9], null, v16, s22, 0
	s_delay_alu instid0(VALU_DEP_1) | instskip(NEXT) | instid1(VALU_DEP_1)
	v_add3_u32 v9, v9, v13, v12
	v_lshlrev_b64 v[8:9], 1, v[8:9]
	s_delay_alu instid0(VALU_DEP_1) | instskip(NEXT) | instid1(VALU_DEP_2)
	v_add_co_u32 v8, vcc_lo, v14, v8
	v_add_co_ci_u32_e32 v9, vcc_lo, v15, v9, vcc_lo
	s_delay_alu instid0(VALU_DEP_2) | instskip(NEXT) | instid1(VALU_DEP_2)
	v_add_co_u32 v8, vcc_lo, 0x180, v8
	v_add_co_ci_u32_e32 v9, vcc_lo, 0, v9, vcc_lo
.LBB24_105:
	global_load_u16 v8, v[8:9], off
	s_waitcnt vmcnt(0)
	v_and_b32_e32 v8, 0x7fff, v8
	s_delay_alu instid0(VALU_DEP_1) | instskip(SKIP_1) | instid1(VALU_DEP_1)
	v_cmp_ne_u16_e32 vcc_lo, 0, v8
	v_cndmask_b32_e64 v8, 0, 1, vcc_lo
	v_add_co_u32 v6, vcc_lo, v6, v8
	v_add_co_ci_u32_e32 v7, vcc_lo, 0, v7, vcc_lo
.LBB24_106:
	s_or_b32 exec_lo, exec_lo, s0
	v_or_b32_e32 v8, 1, v16
	v_mov_b32_e32 v9, v17
	v_cndmask_b32_e64 v18, 0, 1, s1
	s_mov_b32 s0, exec_lo
	s_delay_alu instid0(VALU_DEP_2)
	v_cmpx_gt_i64_e64 s[18:19], v[8:9]
	s_cbranch_execz .LBB24_112
; %bb.107:
	s_and_not1_b32 vcc_lo, exec_lo, s1
	s_cbranch_vccnz .LBB24_109
; %bb.108:
	v_add_co_u32 v12, vcc_lo, v10, 2
	v_add_co_ci_u32_e32 v13, vcc_lo, 0, v11, vcc_lo
	s_cbranch_execz .LBB24_110
	s_branch .LBB24_111
.LBB24_109:
                                        ; implicit-def: $vgpr12_vgpr13
.LBB24_110:
	v_mul_lo_u32 v9, v9, s22
	v_mul_lo_u32 v19, v8, s23
	v_mad_u64_u32 v[12:13], null, v8, s22, 0
	s_delay_alu instid0(VALU_DEP_1) | instskip(NEXT) | instid1(VALU_DEP_1)
	v_add3_u32 v13, v13, v19, v9
	v_lshlrev_b64 v[8:9], 1, v[12:13]
	s_delay_alu instid0(VALU_DEP_1) | instskip(NEXT) | instid1(VALU_DEP_2)
	v_add_co_u32 v8, vcc_lo, v14, v8
	v_add_co_ci_u32_e32 v9, vcc_lo, v15, v9, vcc_lo
	s_delay_alu instid0(VALU_DEP_2) | instskip(NEXT) | instid1(VALU_DEP_2)
	v_add_co_u32 v12, vcc_lo, 0x180, v8
	v_add_co_ci_u32_e32 v13, vcc_lo, 0, v9, vcc_lo
.LBB24_111:
	global_load_u16 v8, v[12:13], off
	s_waitcnt vmcnt(0)
	v_and_b32_e32 v8, 0x7fff, v8
	s_delay_alu instid0(VALU_DEP_1) | instskip(SKIP_1) | instid1(VALU_DEP_1)
	v_cmp_ne_u16_e32 vcc_lo, 0, v8
	v_cndmask_b32_e64 v8, 0, 1, vcc_lo
	v_add_co_u32 v6, vcc_lo, v6, v8
	v_add_co_ci_u32_e32 v7, vcc_lo, 0, v7, vcc_lo
.LBB24_112:
	s_or_b32 exec_lo, exec_lo, s0
	v_or_b32_e32 v8, 2, v16
	v_mov_b32_e32 v9, v17
	s_mov_b32 s0, exec_lo
	s_delay_alu instid0(VALU_DEP_1)
	v_cmpx_gt_i64_e64 s[18:19], v[8:9]
	s_cbranch_execz .LBB24_118
; %bb.113:
	v_cmp_ne_u32_e32 vcc_lo, 1, v18
	s_cbranch_vccnz .LBB24_115
; %bb.114:
	v_add_co_u32 v12, vcc_lo, v10, 4
	v_add_co_ci_u32_e32 v13, vcc_lo, 0, v11, vcc_lo
	s_cbranch_execz .LBB24_116
	s_branch .LBB24_117
.LBB24_115:
                                        ; implicit-def: $vgpr12_vgpr13
.LBB24_116:
	v_mul_lo_u32 v9, v9, s22
	v_mul_lo_u32 v19, v8, s23
	v_mad_u64_u32 v[12:13], null, v8, s22, 0
	s_delay_alu instid0(VALU_DEP_1) | instskip(NEXT) | instid1(VALU_DEP_1)
	v_add3_u32 v13, v13, v19, v9
	v_lshlrev_b64 v[8:9], 1, v[12:13]
	s_delay_alu instid0(VALU_DEP_1) | instskip(NEXT) | instid1(VALU_DEP_2)
	v_add_co_u32 v8, vcc_lo, v14, v8
	v_add_co_ci_u32_e32 v9, vcc_lo, v15, v9, vcc_lo
	s_delay_alu instid0(VALU_DEP_2) | instskip(NEXT) | instid1(VALU_DEP_2)
	v_add_co_u32 v12, vcc_lo, 0x180, v8
	v_add_co_ci_u32_e32 v13, vcc_lo, 0, v9, vcc_lo
.LBB24_117:
	global_load_u16 v8, v[12:13], off
	s_waitcnt vmcnt(0)
	v_and_b32_e32 v8, 0x7fff, v8
	s_delay_alu instid0(VALU_DEP_1) | instskip(SKIP_1) | instid1(VALU_DEP_1)
	v_cmp_ne_u16_e32 vcc_lo, 0, v8
	v_cndmask_b32_e64 v8, 0, 1, vcc_lo
	v_add_co_u32 v6, vcc_lo, v6, v8
	v_add_co_ci_u32_e32 v7, vcc_lo, 0, v7, vcc_lo
.LBB24_118:
	s_or_b32 exec_lo, exec_lo, s0
	v_or_b32_e32 v16, 3, v16
	s_mov_b32 s0, exec_lo
	s_delay_alu instid0(VALU_DEP_1)
	v_cmpx_gt_i64_e64 s[18:19], v[16:17]
	s_cbranch_execz .LBB24_124
; %bb.119:
	v_cmp_ne_u32_e32 vcc_lo, 1, v18
	s_cbranch_vccnz .LBB24_121
; %bb.120:
	v_add_co_u32 v8, vcc_lo, v10, 6
	v_add_co_ci_u32_e32 v9, vcc_lo, 0, v11, vcc_lo
	s_cbranch_execz .LBB24_122
	s_branch .LBB24_123
.LBB24_121:
                                        ; implicit-def: $vgpr8_vgpr9
.LBB24_122:
	v_mul_lo_u32 v10, v17, s22
	v_mul_lo_u32 v11, v16, s23
	v_mad_u64_u32 v[8:9], null, v16, s22, 0
	s_delay_alu instid0(VALU_DEP_1) | instskip(NEXT) | instid1(VALU_DEP_1)
	v_add3_u32 v9, v9, v11, v10
	v_lshlrev_b64 v[8:9], 1, v[8:9]
	s_delay_alu instid0(VALU_DEP_1) | instskip(NEXT) | instid1(VALU_DEP_2)
	v_add_co_u32 v8, vcc_lo, v14, v8
	v_add_co_ci_u32_e32 v9, vcc_lo, v15, v9, vcc_lo
	s_delay_alu instid0(VALU_DEP_2) | instskip(NEXT) | instid1(VALU_DEP_2)
	v_add_co_u32 v8, vcc_lo, 0x180, v8
	v_add_co_ci_u32_e32 v9, vcc_lo, 0, v9, vcc_lo
.LBB24_123:
	global_load_u16 v8, v[8:9], off
	s_waitcnt vmcnt(0)
	v_and_b32_e32 v8, 0x7fff, v8
	s_delay_alu instid0(VALU_DEP_1) | instskip(SKIP_1) | instid1(VALU_DEP_1)
	v_cmp_ne_u16_e32 vcc_lo, 0, v8
	v_cndmask_b32_e64 v8, 0, 1, vcc_lo
	v_add_co_u32 v6, vcc_lo, v6, v8
	v_add_co_ci_u32_e32 v7, vcc_lo, 0, v7, vcc_lo
.LBB24_124:
	s_or_b32 exec_lo, exec_lo, s0
.LBB24_125:
	s_delay_alu instid0(SALU_CYCLE_1)
	s_or_b32 exec_lo, exec_lo, s3
.LBB24_126:
	v_lshlrev_b32_e32 v8, 2, v30
	s_mov_b32 s0, exec_lo
	s_delay_alu instid0(VALU_DEP_1) | instskip(NEXT) | instid1(VALU_DEP_1)
	v_and_or_b32 v8, 0x1fffff00, v8, v31
	v_lshlrev_b32_e32 v8, 3, v8
	ds_store_2addr_stride64_b64 v8, v[0:1], v[2:3] offset1:1
	ds_store_2addr_stride64_b64 v8, v[4:5], v[6:7] offset0:2 offset1:3
	s_waitcnt lgkmcnt(0)
	s_barrier
	buffer_gl0_inv
	v_cmpx_gt_u32_e32 0x100, v30
	s_cbranch_execz .LBB24_129
; %bb.127:
	v_lshlrev_b32_e32 v12, 3, v30
	ds_load_2addr_stride64_b64 v[0:3], v12 offset1:4
	ds_load_2addr_stride64_b64 v[4:7], v12 offset0:8 offset1:12
	ds_load_2addr_stride64_b64 v[8:11], v12 offset0:16 offset1:20
	s_waitcnt lgkmcnt(2)
	v_add_co_u32 v13, vcc_lo, v0, v2
	v_add_co_ci_u32_e32 v14, vcc_lo, v1, v3, vcc_lo
	ds_load_2addr_stride64_b64 v[0:3], v12 offset0:24 offset1:28
	s_waitcnt lgkmcnt(2)
	v_add_co_u32 v4, vcc_lo, v13, v4
	v_add_co_ci_u32_e32 v5, vcc_lo, v14, v5, vcc_lo
	s_delay_alu instid0(VALU_DEP_2) | instskip(NEXT) | instid1(VALU_DEP_2)
	v_add_co_u32 v13, vcc_lo, v4, v6
	v_add_co_ci_u32_e32 v14, vcc_lo, v5, v7, vcc_lo
	ds_load_2addr_stride64_b64 v[4:7], v12 offset0:32 offset1:36
	s_waitcnt lgkmcnt(2)
	v_add_co_u32 v8, vcc_lo, v13, v8
	v_add_co_ci_u32_e32 v9, vcc_lo, v14, v9, vcc_lo
	s_delay_alu instid0(VALU_DEP_2) | instskip(NEXT) | instid1(VALU_DEP_2)
	;; [unrolled: 7-line block ×5, first 2 shown]
	v_add_co_u32 v8, vcc_lo, v8, v10
	v_add_co_ci_u32_e32 v9, vcc_lo, v9, v11, vcc_lo
	s_waitcnt lgkmcnt(1)
	s_delay_alu instid0(VALU_DEP_2) | instskip(NEXT) | instid1(VALU_DEP_2)
	v_add_co_u32 v0, vcc_lo, v8, v0
	v_add_co_ci_u32_e32 v1, vcc_lo, v9, v1, vcc_lo
	s_delay_alu instid0(VALU_DEP_2) | instskip(NEXT) | instid1(VALU_DEP_2)
	v_add_co_u32 v0, vcc_lo, v0, v2
	v_add_co_ci_u32_e32 v1, vcc_lo, v1, v3, vcc_lo
	v_add_co_u32 v2, s0, v30, s5
	s_waitcnt lgkmcnt(0)
	s_delay_alu instid0(VALU_DEP_3) | instskip(NEXT) | instid1(VALU_DEP_3)
	v_add_co_u32 v0, vcc_lo, v0, v4
	v_add_co_ci_u32_e32 v1, vcc_lo, v1, v5, vcc_lo
	v_add_co_ci_u32_e64 v3, null, 0, 0, s0
	s_delay_alu instid0(VALU_DEP_3) | instskip(NEXT) | instid1(VALU_DEP_3)
	v_add_co_u32 v0, vcc_lo, v0, v6
	v_add_co_ci_u32_e32 v1, vcc_lo, v1, v7, vcc_lo
	s_delay_alu instid0(VALU_DEP_3)
	v_cmp_gt_i64_e32 vcc_lo, s[16:17], v[2:3]
	ds_store_b64 v12, v[0:1]
	s_and_b32 exec_lo, exec_lo, vcc_lo
	s_cbranch_execz .LBB24_129
; %bb.128:
	v_lshlrev_b64 v[2:3], 3, v[2:3]
	s_delay_alu instid0(VALU_DEP_1) | instskip(NEXT) | instid1(VALU_DEP_2)
	v_add_co_u32 v2, vcc_lo, s6, v2
	v_add_co_ci_u32_e32 v3, vcc_lo, s7, v3, vcc_lo
	global_store_b64 v[2:3], v[0:1], off
.LBB24_129:
	s_nop 0
	s_sendmsg sendmsg(MSG_DEALLOC_VGPRS)
	s_endpgm
	.section	.rodata,"a",@progbits
	.p2align	6, 0x0
	.amdhsa_kernel _ZN9rocsparseL14nnz_kernel_rowILi64ELi16Ell18rocsparse_bfloat16EEv16rocsparse_order_T2_S3_PKT3_lPT1_
		.amdhsa_group_segment_fixed_size 32768
		.amdhsa_private_segment_fixed_size 0
		.amdhsa_kernarg_size 304
		.amdhsa_user_sgpr_count 15
		.amdhsa_user_sgpr_dispatch_ptr 0
		.amdhsa_user_sgpr_queue_ptr 0
		.amdhsa_user_sgpr_kernarg_segment_ptr 1
		.amdhsa_user_sgpr_dispatch_id 0
		.amdhsa_user_sgpr_private_segment_size 0
		.amdhsa_wavefront_size32 1
		.amdhsa_uses_dynamic_stack 0
		.amdhsa_enable_private_segment 0
		.amdhsa_system_sgpr_workgroup_id_x 1
		.amdhsa_system_sgpr_workgroup_id_y 0
		.amdhsa_system_sgpr_workgroup_id_z 0
		.amdhsa_system_sgpr_workgroup_info 0
		.amdhsa_system_vgpr_workitem_id 1
		.amdhsa_next_free_vgpr 43
		.amdhsa_next_free_sgpr 30
		.amdhsa_reserve_vcc 1
		.amdhsa_float_round_mode_32 0
		.amdhsa_float_round_mode_16_64 0
		.amdhsa_float_denorm_mode_32 3
		.amdhsa_float_denorm_mode_16_64 3
		.amdhsa_dx10_clamp 1
		.amdhsa_ieee_mode 1
		.amdhsa_fp16_overflow 0
		.amdhsa_workgroup_processor_mode 1
		.amdhsa_memory_ordered 1
		.amdhsa_forward_progress 0
		.amdhsa_shared_vgpr_count 0
		.amdhsa_exception_fp_ieee_invalid_op 0
		.amdhsa_exception_fp_denorm_src 0
		.amdhsa_exception_fp_ieee_div_zero 0
		.amdhsa_exception_fp_ieee_overflow 0
		.amdhsa_exception_fp_ieee_underflow 0
		.amdhsa_exception_fp_ieee_inexact 0
		.amdhsa_exception_int_div_zero 0
	.end_amdhsa_kernel
	.section	.text._ZN9rocsparseL14nnz_kernel_rowILi64ELi16Ell18rocsparse_bfloat16EEv16rocsparse_order_T2_S3_PKT3_lPT1_,"axG",@progbits,_ZN9rocsparseL14nnz_kernel_rowILi64ELi16Ell18rocsparse_bfloat16EEv16rocsparse_order_T2_S3_PKT3_lPT1_,comdat
.Lfunc_end24:
	.size	_ZN9rocsparseL14nnz_kernel_rowILi64ELi16Ell18rocsparse_bfloat16EEv16rocsparse_order_T2_S3_PKT3_lPT1_, .Lfunc_end24-_ZN9rocsparseL14nnz_kernel_rowILi64ELi16Ell18rocsparse_bfloat16EEv16rocsparse_order_T2_S3_PKT3_lPT1_
                                        ; -- End function
	.section	.AMDGPU.csdata,"",@progbits
; Kernel info:
; codeLenInByte = 7028
; NumSgprs: 32
; NumVgprs: 43
; ScratchSize: 0
; MemoryBound: 0
; FloatMode: 240
; IeeeMode: 1
; LDSByteSize: 32768 bytes/workgroup (compile time only)
; SGPRBlocks: 3
; VGPRBlocks: 5
; NumSGPRsForWavesPerEU: 32
; NumVGPRsForWavesPerEU: 43
; Occupancy: 16
; WaveLimiterHint : 0
; COMPUTE_PGM_RSRC2:SCRATCH_EN: 0
; COMPUTE_PGM_RSRC2:USER_SGPR: 15
; COMPUTE_PGM_RSRC2:TRAP_HANDLER: 0
; COMPUTE_PGM_RSRC2:TGID_X_EN: 1
; COMPUTE_PGM_RSRC2:TGID_Y_EN: 0
; COMPUTE_PGM_RSRC2:TGID_Z_EN: 0
; COMPUTE_PGM_RSRC2:TIDIG_COMP_CNT: 1
	.section	.text._ZN9rocsparseL14nnz_kernel_colILi256Ell18rocsparse_bfloat16EEv16rocsparse_order_T1_S3_PKT2_lPT0_,"axG",@progbits,_ZN9rocsparseL14nnz_kernel_colILi256Ell18rocsparse_bfloat16EEv16rocsparse_order_T1_S3_PKT2_lPT0_,comdat
	.globl	_ZN9rocsparseL14nnz_kernel_colILi256Ell18rocsparse_bfloat16EEv16rocsparse_order_T1_S3_PKT2_lPT0_ ; -- Begin function _ZN9rocsparseL14nnz_kernel_colILi256Ell18rocsparse_bfloat16EEv16rocsparse_order_T1_S3_PKT2_lPT0_
	.p2align	8
	.type	_ZN9rocsparseL14nnz_kernel_colILi256Ell18rocsparse_bfloat16EEv16rocsparse_order_T1_S3_PKT2_lPT0_,@function
_ZN9rocsparseL14nnz_kernel_colILi256Ell18rocsparse_bfloat16EEv16rocsparse_order_T1_S3_PKT2_lPT0_: ; @_ZN9rocsparseL14nnz_kernel_colILi256Ell18rocsparse_bfloat16EEv16rocsparse_order_T1_S3_PKT2_lPT0_
; %bb.0:
	s_clause 0x2
	s_load_b64 s[10:11], s[0:1], 0x8
	s_load_b32 s3, s[0:1], 0x0
	s_load_b128 s[4:7], s[0:1], 0x18
	v_mov_b32_e32 v1, 0
	s_mov_b32 s8, s15
	s_waitcnt lgkmcnt(0)
	s_ashr_i32 s2, s11, 31
	s_delay_alu instid0(SALU_CYCLE_1) | instskip(NEXT) | instid1(SALU_CYCLE_1)
	s_lshr_b32 s2, s2, 24
	s_add_u32 s9, s10, s2
	v_cmp_gt_i64_e64 s2, 0x100, s[10:11]
	s_addc_u32 s13, s11, 0
	s_and_b32 s12, s9, 0xffffff00
	s_cmp_eq_u32 s3, 1
	s_mov_b32 s9, 0
	s_cbranch_scc1 .LBB25_6
; %bb.1:
	v_mov_b32_e32 v2, 0
	v_mov_b32_e32 v3, 0
	s_and_b32 vcc_lo, exec_lo, s2
	s_cbranch_vccnz .LBB25_7
; %bb.2:
	v_mad_u64_u32 v[2:3], null, s6, v0, 0
	s_lshl_b64 s[2:3], s[8:9], 1
	s_mov_b64 s[14:15], 0
	s_add_u32 s2, s4, s2
	s_addc_u32 s3, s5, s3
	s_delay_alu instid0(VALU_DEP_1) | instskip(NEXT) | instid1(VALU_DEP_1)
	v_mad_u64_u32 v[4:5], null, s7, v0, v[3:4]
	v_mov_b32_e32 v3, v4
	s_delay_alu instid0(VALU_DEP_1) | instskip(SKIP_2) | instid1(VALU_DEP_3)
	v_lshlrev_b64 v[4:5], 1, v[2:3]
	v_mov_b32_e32 v2, 0
	v_mov_b32_e32 v3, 0
	v_add_co_u32 v4, vcc_lo, s2, v4
	s_delay_alu instid0(VALU_DEP_4)
	v_add_co_ci_u32_e32 v5, vcc_lo, s3, v5, vcc_lo
	s_lshl_b64 s[2:3], s[6:7], 9
	s_set_inst_prefetch_distance 0x1
	s_branch .LBB25_4
	.p2align	6
.LBB25_3:                               ;   in Loop: Header=BB25_4 Depth=1
	s_or_b32 exec_lo, exec_lo, s16
	s_add_u32 s14, s14, 0x100
	s_addc_u32 s15, s15, 0
	v_add_co_u32 v4, vcc_lo, v4, s2
	v_cmp_ge_i64_e64 s16, s[14:15], s[12:13]
	v_add_co_ci_u32_e32 v5, vcc_lo, s3, v5, vcc_lo
	s_delay_alu instid0(VALU_DEP_2)
	s_and_b32 vcc_lo, exec_lo, s16
	s_cbranch_vccnz .LBB25_7
.LBB25_4:                               ; =>This Inner Loop Header: Depth=1
	v_add_co_u32 v6, s16, v0, s14
	s_delay_alu instid0(VALU_DEP_1) | instskip(SKIP_1) | instid1(VALU_DEP_1)
	v_add_co_ci_u32_e64 v7, null, 0, s15, s16
	s_mov_b32 s16, exec_lo
	v_cmpx_gt_i64_e64 s[10:11], v[6:7]
	s_cbranch_execz .LBB25_3
; %bb.5:                                ;   in Loop: Header=BB25_4 Depth=1
	global_load_u16 v6, v[4:5], off
	s_waitcnt vmcnt(0)
	v_and_b32_e32 v6, 0x7fff, v6
	s_delay_alu instid0(VALU_DEP_1) | instskip(SKIP_1) | instid1(VALU_DEP_1)
	v_cmp_ne_u16_e32 vcc_lo, 0, v6
	v_cndmask_b32_e64 v6, 0, 1, vcc_lo
	v_add_co_u32 v2, vcc_lo, v2, v6
	v_add_co_ci_u32_e32 v3, vcc_lo, 0, v3, vcc_lo
	s_branch .LBB25_3
.LBB25_6:
	s_mov_b32 s3, s9
                                        ; implicit-def: $vgpr2_vgpr3
                                        ; implicit-def: $vgpr4_vgpr5
	s_cbranch_execnz .LBB25_10
	s_branch .LBB25_16
.LBB25_7:
	s_set_inst_prefetch_distance 0x2
	v_add_co_u32 v6, s2, s12, v0
	s_delay_alu instid0(VALU_DEP_1) | instskip(SKIP_3) | instid1(VALU_DEP_1)
	v_add_co_ci_u32_e64 v7, null, s13, 0, s2
	s_mov_b32 s2, 0
	s_mov_b32 s3, 0
	s_mov_b32 s14, exec_lo
                                        ; implicit-def: $vgpr4_vgpr5
	v_cmpx_gt_i64_e64 s[10:11], v[6:7]
	s_xor_b32 s14, exec_lo, s14
; %bb.8:
	v_mul_lo_u32 v7, v7, s6
	v_mul_lo_u32 v8, v6, s7
	v_mad_u64_u32 v[4:5], null, v6, s6, 0
	s_lshl_b64 s[16:17], s[8:9], 1
	s_mov_b32 s3, exec_lo
	s_add_u32 s15, s16, s4
	s_addc_u32 s16, s17, s5
	s_delay_alu instid0(VALU_DEP_1) | instskip(NEXT) | instid1(VALU_DEP_1)
	v_add3_u32 v5, v5, v8, v7
	v_lshlrev_b64 v[4:5], 1, v[4:5]
	s_delay_alu instid0(VALU_DEP_1) | instskip(NEXT) | instid1(VALU_DEP_2)
	v_add_co_u32 v4, vcc_lo, s15, v4
	v_add_co_ci_u32_e32 v5, vcc_lo, s16, v5, vcc_lo
; %bb.9:
	s_or_b32 exec_lo, exec_lo, s14
	s_delay_alu instid0(SALU_CYCLE_1)
	s_and_b32 vcc_lo, exec_lo, s2
	s_cbranch_vccz .LBB25_16
.LBB25_10:
	v_cmp_gt_i64_e32 vcc_lo, s[10:11], v[0:1]
	s_mul_i32 s2, s8, s7
	s_mul_hi_u32 s7, s8, s6
	s_mul_i32 s6, s8, s6
	s_add_i32 s7, s7, s2
	v_dual_mov_b32 v2, 0 :: v_dual_cndmask_b32 v1, 0, v0
	s_lshl_b64 s[6:7], s[6:7], 1
	v_mov_b32_e32 v3, 0
	s_add_u32 s2, s4, s6
	s_addc_u32 s4, s5, s7
	v_lshlrev_b32_e32 v1, 1, v1
	v_cmp_gt_i64_e64 s5, 0x100, s[10:11]
	s_delay_alu instid0(VALU_DEP_2) | instskip(NEXT) | instid1(VALU_DEP_1)
	v_add_co_u32 v6, s2, s2, v1
	v_add_co_ci_u32_e64 v7, null, s4, 0, s2
	s_delay_alu instid0(VALU_DEP_3)
	s_and_b32 vcc_lo, exec_lo, s5
	s_cbranch_vccnz .LBB25_13
; %bb.11:
	v_mov_b32_e32 v2, 0
	v_dual_mov_b32 v3, 0 :: v_dual_mov_b32 v4, v6
	v_mov_b32_e32 v5, v7
	s_mov_b64 s[4:5], 0
	.p2align	6
.LBB25_12:                              ; =>This Inner Loop Header: Depth=1
	global_load_u16 v1, v[4:5], off
	v_add_co_u32 v4, vcc_lo, 0x200, v4
	v_add_co_ci_u32_e32 v5, vcc_lo, 0, v5, vcc_lo
	s_add_u32 s4, s4, 0x100
	s_addc_u32 s5, s5, 0
	s_delay_alu instid0(SALU_CYCLE_1) | instskip(SKIP_2) | instid1(VALU_DEP_1)
	v_cmp_ge_i64_e64 s2, s[4:5], s[12:13]
	s_waitcnt vmcnt(0)
	v_and_b32_e32 v1, 0x7fff, v1
	v_cmp_ne_u16_e32 vcc_lo, 0, v1
	v_cndmask_b32_e64 v1, 0, 1, vcc_lo
	s_delay_alu instid0(VALU_DEP_4) | instskip(NEXT) | instid1(VALU_DEP_1)
	s_and_b32 vcc_lo, exec_lo, s2
	v_add_co_u32 v2, s2, v2, v1
	s_delay_alu instid0(VALU_DEP_1)
	v_add_co_ci_u32_e64 v3, s2, 0, v3, s2
	s_cbranch_vccz .LBB25_12
.LBB25_13:
	v_add_co_u32 v4, s2, s12, v0
	s_delay_alu instid0(VALU_DEP_1) | instskip(NEXT) | instid1(VALU_DEP_1)
	v_add_co_ci_u32_e64 v5, null, s13, 0, s2
	v_cmp_gt_i64_e32 vcc_lo, s[10:11], v[4:5]
                                        ; implicit-def: $vgpr4_vgpr5
	s_and_saveexec_b32 s2, vcc_lo
; %bb.14:
	s_lshl_b64 s[4:5], s[12:13], 1
	s_or_b32 s3, s3, exec_lo
	v_add_co_u32 v4, vcc_lo, v6, s4
	v_add_co_ci_u32_e32 v5, vcc_lo, s5, v7, vcc_lo
; %bb.15:
	s_or_b32 exec_lo, exec_lo, s2
.LBB25_16:
	s_and_saveexec_b32 s2, s3
	s_cbranch_execz .LBB25_18
; %bb.17:
	global_load_u16 v1, v[4:5], off
	s_waitcnt vmcnt(0)
	v_and_b32_e32 v1, 0x7fff, v1
	s_delay_alu instid0(VALU_DEP_1) | instskip(SKIP_1) | instid1(VALU_DEP_1)
	v_cmp_ne_u16_e32 vcc_lo, 0, v1
	v_cndmask_b32_e64 v1, 0, 1, vcc_lo
	v_add_co_u32 v2, vcc_lo, v2, v1
	v_add_co_ci_u32_e32 v3, vcc_lo, 0, v3, vcc_lo
.LBB25_18:
	s_or_b32 exec_lo, exec_lo, s2
	v_cmp_gt_i64_e64 s2, 0x100, s[10:11]
	v_lshlrev_b32_e32 v4, 3, v0
	s_mov_b32 s3, -1
	ds_store_b64 v4, v[2:3]
	s_and_b32 vcc_lo, exec_lo, s2
	v_cmp_eq_u32_e64 s2, 0, v0
	s_waitcnt lgkmcnt(0)
	s_cbranch_vccz .LBB25_28
; %bb.19:
	v_cmp_gt_i64_e64 s3, s[10:11], 1
	s_mov_b64 s[4:5], 1
	s_barrier
	buffer_gl0_inv
	s_and_b32 s2, s2, s3
	s_delay_alu instid0(SALU_CYCLE_1)
	s_and_saveexec_b32 s5, s2
	s_cbranch_execz .LBB25_27
; %bb.20:
	v_mov_b32_e32 v1, 0
	s_add_u32 s12, s10, -1
	s_addc_u32 s3, s11, -1
	s_add_u32 s6, s10, -2
	s_addc_u32 s7, s11, -1
	ds_load_b64 v[1:2], v1
	v_cmp_lt_u64_e64 s2, s[6:7], 7
	s_delay_alu instid0(VALU_DEP_1)
	s_and_b32 vcc_lo, exec_lo, s2
	s_cbranch_vccnz .LBB25_23
; %bb.21:
	s_and_b32 s2, s12, -8
	s_mov_b64 s[6:7], 0
	s_mov_b32 s10, 8
	s_set_inst_prefetch_distance 0x1
	.p2align	6
.LBB25_22:                              ; =>This Inner Loop Header: Depth=1
	v_mov_b32_e32 v3, s10
	s_add_u32 s14, s6, 8
	s_addc_u32 s15, s7, 0
	s_add_i32 s10, s10, 64
	s_add_u32 s4, s6, 9
	ds_load_2addr_b64 v[5:8], v3 offset1:1
	ds_load_2addr_b64 v[9:12], v3 offset0:2 offset1:3
	ds_load_2addr_b64 v[13:16], v3 offset0:4 offset1:5
	s_cmp_lg_u64 s[2:3], s[14:15]
	s_mov_b64 s[6:7], s[14:15]
	s_waitcnt lgkmcnt(2)
	v_add_co_u32 v1, vcc_lo, v1, v5
	v_add_co_ci_u32_e32 v2, vcc_lo, v2, v6, vcc_lo
	s_delay_alu instid0(VALU_DEP_2) | instskip(NEXT) | instid1(VALU_DEP_2)
	v_add_co_u32 v1, vcc_lo, v1, v7
	v_add_co_ci_u32_e32 v2, vcc_lo, v2, v8, vcc_lo
	ds_load_2addr_b64 v[5:8], v3 offset0:6 offset1:7
	s_waitcnt lgkmcnt(2)
	v_add_co_u32 v1, vcc_lo, v1, v9
	v_add_co_ci_u32_e32 v2, vcc_lo, v2, v10, vcc_lo
	s_delay_alu instid0(VALU_DEP_2) | instskip(NEXT) | instid1(VALU_DEP_2)
	v_add_co_u32 v1, vcc_lo, v1, v11
	v_add_co_ci_u32_e32 v2, vcc_lo, v2, v12, vcc_lo
	s_waitcnt lgkmcnt(1)
	s_delay_alu instid0(VALU_DEP_2) | instskip(NEXT) | instid1(VALU_DEP_2)
	v_add_co_u32 v1, vcc_lo, v1, v13
	v_add_co_ci_u32_e32 v2, vcc_lo, v2, v14, vcc_lo
	s_delay_alu instid0(VALU_DEP_2) | instskip(NEXT) | instid1(VALU_DEP_2)
	v_add_co_u32 v1, vcc_lo, v1, v15
	v_add_co_ci_u32_e32 v2, vcc_lo, v2, v16, vcc_lo
	s_waitcnt lgkmcnt(0)
	s_delay_alu instid0(VALU_DEP_2) | instskip(NEXT) | instid1(VALU_DEP_2)
	v_add_co_u32 v1, vcc_lo, v1, v5
	v_add_co_ci_u32_e32 v2, vcc_lo, v2, v6, vcc_lo
	s_delay_alu instid0(VALU_DEP_2) | instskip(NEXT) | instid1(VALU_DEP_2)
	v_add_co_u32 v1, vcc_lo, v1, v7
	v_add_co_ci_u32_e32 v2, vcc_lo, v2, v8, vcc_lo
	s_cbranch_scc1 .LBB25_22
.LBB25_23:
	s_set_inst_prefetch_distance 0x2
	s_and_b32 s2, s12, 7
	s_mov_b32 s3, 0
	s_delay_alu instid0(SALU_CYCLE_1)
	s_cmp_eq_u64 s[2:3], 0
	s_cbranch_scc1 .LBB25_26
; %bb.24:
	s_lshl_b32 s4, s4, 3
.LBB25_25:                              ; =>This Inner Loop Header: Depth=1
	s_delay_alu instid0(SALU_CYCLE_1) | instskip(SKIP_3) | instid1(SALU_CYCLE_1)
	v_mov_b32_e32 v3, s4
	s_add_i32 s4, s4, 8
	s_add_u32 s2, s2, -1
	s_addc_u32 s3, s3, -1
	s_cmp_lg_u64 s[2:3], 0
	ds_load_b64 v[5:6], v3
	s_waitcnt lgkmcnt(0)
	v_add_co_u32 v1, vcc_lo, v1, v5
	v_add_co_ci_u32_e32 v2, vcc_lo, v2, v6, vcc_lo
	s_cbranch_scc1 .LBB25_25
.LBB25_26:
	v_mov_b32_e32 v3, 0
	s_waitcnt lgkmcnt(0)
	ds_store_b64 v3, v[1:2]
.LBB25_27:
	s_or_b32 exec_lo, exec_lo, s5
	s_mov_b32 s3, 0
	s_waitcnt lgkmcnt(0)
	s_barrier
.LBB25_28:
	s_and_b32 vcc_lo, exec_lo, s3
	s_cbranch_vccz .LBB25_46
; %bb.29:
	s_mov_b32 s2, exec_lo
	s_barrier
	buffer_gl0_inv
	v_cmpx_gt_u32_e32 0x80, v0
	s_cbranch_execz .LBB25_31
; %bb.30:
	ds_load_2addr_stride64_b64 v[5:8], v4 offset1:2
	s_waitcnt lgkmcnt(0)
	v_add_co_u32 v1, vcc_lo, v5, v7
	v_add_co_ci_u32_e32 v2, vcc_lo, v6, v8, vcc_lo
	ds_store_b64 v4, v[1:2]
.LBB25_31:
	s_or_b32 exec_lo, exec_lo, s2
	s_delay_alu instid0(SALU_CYCLE_1)
	s_mov_b32 s2, exec_lo
	s_waitcnt lgkmcnt(0)
	s_barrier
	buffer_gl0_inv
	v_cmpx_gt_u32_e32 64, v0
	s_cbranch_execz .LBB25_33
; %bb.32:
	ds_load_2addr_stride64_b64 v[5:8], v4 offset1:1
	s_waitcnt lgkmcnt(0)
	v_add_co_u32 v1, vcc_lo, v5, v7
	v_add_co_ci_u32_e32 v2, vcc_lo, v6, v8, vcc_lo
	ds_store_b64 v4, v[1:2]
.LBB25_33:
	s_or_b32 exec_lo, exec_lo, s2
	s_delay_alu instid0(SALU_CYCLE_1)
	s_mov_b32 s2, exec_lo
	s_waitcnt lgkmcnt(0)
	s_barrier
	buffer_gl0_inv
	v_cmpx_gt_u32_e32 32, v0
	s_cbranch_execz .LBB25_35
; %bb.34:
	ds_load_2addr_b64 v[5:8], v4 offset1:32
	s_waitcnt lgkmcnt(0)
	v_add_co_u32 v1, vcc_lo, v5, v7
	v_add_co_ci_u32_e32 v2, vcc_lo, v6, v8, vcc_lo
	ds_store_b64 v4, v[1:2]
.LBB25_35:
	s_or_b32 exec_lo, exec_lo, s2
	s_delay_alu instid0(SALU_CYCLE_1)
	s_mov_b32 s2, exec_lo
	s_waitcnt lgkmcnt(0)
	s_barrier
	buffer_gl0_inv
	v_cmpx_gt_u32_e32 16, v0
	s_cbranch_execz .LBB25_37
; %bb.36:
	ds_load_2addr_b64 v[5:8], v4 offset1:16
	s_waitcnt lgkmcnt(0)
	v_add_co_u32 v1, vcc_lo, v5, v7
	v_add_co_ci_u32_e32 v2, vcc_lo, v6, v8, vcc_lo
	ds_store_b64 v4, v[1:2]
.LBB25_37:
	;; [unrolled: 15-line block ×5, first 2 shown]
	s_or_b32 exec_lo, exec_lo, s2
	s_delay_alu instid0(SALU_CYCLE_1)
	s_mov_b32 s2, exec_lo
	s_waitcnt lgkmcnt(0)
	s_barrier
	buffer_gl0_inv
	v_cmpx_eq_u32_e32 0, v0
	s_cbranch_execz .LBB25_45
; %bb.44:
	v_mov_b32_e32 v5, 0
	ds_load_b128 v[1:4], v5
	s_waitcnt lgkmcnt(0)
	v_add_co_u32 v1, vcc_lo, v1, v3
	v_add_co_ci_u32_e32 v2, vcc_lo, v2, v4, vcc_lo
	ds_store_b64 v5, v[1:2]
.LBB25_45:
	s_or_b32 exec_lo, exec_lo, s2
	s_waitcnt lgkmcnt(0)
	s_barrier
.LBB25_46:
	buffer_gl0_inv
	s_mov_b32 s2, exec_lo
	v_cmpx_eq_u32_e32 0, v0
	s_cbranch_execz .LBB25_48
; %bb.47:
	v_mov_b32_e32 v2, 0
	s_load_b64 s[0:1], s[0:1], 0x28
	s_lshl_b64 s[2:3], s[8:9], 3
	ds_load_b64 v[0:1], v2
	s_waitcnt lgkmcnt(0)
	s_add_u32 s0, s0, s2
	s_addc_u32 s1, s1, s3
	global_store_b64 v2, v[0:1], s[0:1]
.LBB25_48:
	s_nop 0
	s_sendmsg sendmsg(MSG_DEALLOC_VGPRS)
	s_endpgm
	.section	.rodata,"a",@progbits
	.p2align	6, 0x0
	.amdhsa_kernel _ZN9rocsparseL14nnz_kernel_colILi256Ell18rocsparse_bfloat16EEv16rocsparse_order_T1_S3_PKT2_lPT0_
		.amdhsa_group_segment_fixed_size 2048
		.amdhsa_private_segment_fixed_size 0
		.amdhsa_kernarg_size 48
		.amdhsa_user_sgpr_count 15
		.amdhsa_user_sgpr_dispatch_ptr 0
		.amdhsa_user_sgpr_queue_ptr 0
		.amdhsa_user_sgpr_kernarg_segment_ptr 1
		.amdhsa_user_sgpr_dispatch_id 0
		.amdhsa_user_sgpr_private_segment_size 0
		.amdhsa_wavefront_size32 1
		.amdhsa_uses_dynamic_stack 0
		.amdhsa_enable_private_segment 0
		.amdhsa_system_sgpr_workgroup_id_x 1
		.amdhsa_system_sgpr_workgroup_id_y 0
		.amdhsa_system_sgpr_workgroup_id_z 0
		.amdhsa_system_sgpr_workgroup_info 0
		.amdhsa_system_vgpr_workitem_id 0
		.amdhsa_next_free_vgpr 17
		.amdhsa_next_free_sgpr 18
		.amdhsa_reserve_vcc 1
		.amdhsa_float_round_mode_32 0
		.amdhsa_float_round_mode_16_64 0
		.amdhsa_float_denorm_mode_32 3
		.amdhsa_float_denorm_mode_16_64 3
		.amdhsa_dx10_clamp 1
		.amdhsa_ieee_mode 1
		.amdhsa_fp16_overflow 0
		.amdhsa_workgroup_processor_mode 1
		.amdhsa_memory_ordered 1
		.amdhsa_forward_progress 0
		.amdhsa_shared_vgpr_count 0
		.amdhsa_exception_fp_ieee_invalid_op 0
		.amdhsa_exception_fp_denorm_src 0
		.amdhsa_exception_fp_ieee_div_zero 0
		.amdhsa_exception_fp_ieee_overflow 0
		.amdhsa_exception_fp_ieee_underflow 0
		.amdhsa_exception_fp_ieee_inexact 0
		.amdhsa_exception_int_div_zero 0
	.end_amdhsa_kernel
	.section	.text._ZN9rocsparseL14nnz_kernel_colILi256Ell18rocsparse_bfloat16EEv16rocsparse_order_T1_S3_PKT2_lPT0_,"axG",@progbits,_ZN9rocsparseL14nnz_kernel_colILi256Ell18rocsparse_bfloat16EEv16rocsparse_order_T1_S3_PKT2_lPT0_,comdat
.Lfunc_end25:
	.size	_ZN9rocsparseL14nnz_kernel_colILi256Ell18rocsparse_bfloat16EEv16rocsparse_order_T1_S3_PKT2_lPT0_, .Lfunc_end25-_ZN9rocsparseL14nnz_kernel_colILi256Ell18rocsparse_bfloat16EEv16rocsparse_order_T1_S3_PKT2_lPT0_
                                        ; -- End function
	.section	.AMDGPU.csdata,"",@progbits
; Kernel info:
; codeLenInByte = 1912
; NumSgprs: 20
; NumVgprs: 17
; ScratchSize: 0
; MemoryBound: 0
; FloatMode: 240
; IeeeMode: 1
; LDSByteSize: 2048 bytes/workgroup (compile time only)
; SGPRBlocks: 2
; VGPRBlocks: 2
; NumSGPRsForWavesPerEU: 20
; NumVGPRsForWavesPerEU: 17
; Occupancy: 16
; WaveLimiterHint : 0
; COMPUTE_PGM_RSRC2:SCRATCH_EN: 0
; COMPUTE_PGM_RSRC2:USER_SGPR: 15
; COMPUTE_PGM_RSRC2:TRAP_HANDLER: 0
; COMPUTE_PGM_RSRC2:TGID_X_EN: 1
; COMPUTE_PGM_RSRC2:TGID_Y_EN: 0
; COMPUTE_PGM_RSRC2:TGID_Z_EN: 0
; COMPUTE_PGM_RSRC2:TIDIG_COMP_CNT: 0
	.section	.text._ZN9rocsparseL14nnz_kernel_rowILi64ELi16EllDF16_EEv16rocsparse_order_T2_S2_PKT3_lPT1_,"axG",@progbits,_ZN9rocsparseL14nnz_kernel_rowILi64ELi16EllDF16_EEv16rocsparse_order_T2_S2_PKT3_lPT1_,comdat
	.globl	_ZN9rocsparseL14nnz_kernel_rowILi64ELi16EllDF16_EEv16rocsparse_order_T2_S2_PKT3_lPT1_ ; -- Begin function _ZN9rocsparseL14nnz_kernel_rowILi64ELi16EllDF16_EEv16rocsparse_order_T2_S2_PKT3_lPT1_
	.p2align	8
	.type	_ZN9rocsparseL14nnz_kernel_rowILi64ELi16EllDF16_EEv16rocsparse_order_T2_S2_PKT3_lPT1_,@function
_ZN9rocsparseL14nnz_kernel_rowILi64ELi16EllDF16_EEv16rocsparse_order_T2_S2_PKT3_lPT1_: ; @_ZN9rocsparseL14nnz_kernel_rowILi64ELi16EllDF16_EEv16rocsparse_order_T2_S2_PKT3_lPT1_
; %bb.0:
	s_clause 0x2
	s_load_b32 s2, s[0:1], 0x3c
	s_load_b256 s[16:23], s[0:1], 0x8
	s_load_b64 s[6:7], s[0:1], 0x28
	s_mov_b32 s8, 0
	s_lshl_b32 s5, s15, 8
	s_mov_b32 s9, s8
	s_mov_b32 s10, s8
	;; [unrolled: 1-line block ×7, first 2 shown]
	v_and_b32_e32 v1, 0x3ff, v0
	v_bfe_u32 v0, v0, 10, 10
	s_load_b32 s28, s[0:1], 0x0
	s_mov_b32 s29, exec_lo
	s_waitcnt lgkmcnt(0)
	s_and_b32 s0, s2, 0xffff
	s_delay_alu instid0(SALU_CYCLE_1) | instskip(SKIP_1) | instid1(SALU_CYCLE_1)
	v_mad_u32_u24 v30, v0, s0, v1
	s_ashr_i32 s0, s19, 31
	s_lshr_b32 s0, s0, 26
	s_delay_alu instid0(SALU_CYCLE_1) | instskip(NEXT) | instid1(VALU_DEP_1)
	s_add_u32 s0, s18, s0
	v_lshrrev_b32_e32 v0, 4, v30
	v_and_b32_e32 v31, 63, v30
	v_mov_b32_e32 v19, 0
	s_addc_u32 s27, s19, 0
	s_and_b32 s26, s0, 0xffffffc0
	v_and_b32_e32 v16, 0x7ffffc, v0
	v_mov_b32_e32 v0, s8
	v_or_b32_e32 v18, s5, v31
	v_dual_mov_b32 v17, v19 :: v_dual_mov_b32 v4, s12
	v_dual_mov_b32 v1, s9 :: v_dual_mov_b32 v6, s14
	;; [unrolled: 1-line block ×3, first 2 shown]
	v_mov_b32_e32 v5, s13
	v_mov_b32_e32 v7, s15
	v_or_b32_e32 v24, 64, v18
	v_or_b32_e32 v22, 0x80, v18
	;; [unrolled: 1-line block ×3, first 2 shown]
	s_sub_u32 s24, s18, s26
	s_subb_u32 s25, s19, s27
	v_cmpx_gt_i64_e64 s[26:27], v[16:17]
	s_cbranch_execz .LBB26_28
; %bb.1:
	v_add_co_u32 v0, s0, s5, v31
	s_delay_alu instid0(VALU_DEP_1) | instskip(SKIP_1) | instid1(VALU_DEP_3)
	v_add_co_ci_u32_e64 v1, null, 0, 0, s0
	v_lshrrev_b32_e32 v11, 6, v30
	v_mul_lo_u32 v4, s23, v0
	v_mad_u64_u32 v[2:3], null, s22, v0, 0
	s_delay_alu instid0(VALU_DEP_4) | instskip(SKIP_3) | instid1(VALU_DEP_3)
	v_mul_lo_u32 v5, s22, v1
	v_add_co_u32 v6, vcc_lo, v0, 64
	v_add_co_ci_u32_e32 v7, vcc_lo, 0, v1, vcc_lo
	v_mov_b32_e32 v21, v19
	v_mul_lo_u32 v8, s23, v6
	v_add_co_u32 v9, vcc_lo, 0x80, v0
	v_add3_u32 v3, v3, v5, v4
	v_mul_lo_u32 v7, s22, v7
	v_mad_u64_u32 v[4:5], null, s22, v6, 0
	v_lshlrev_b32_e32 v13, 3, v11
	s_delay_alu instid0(VALU_DEP_4)
	v_lshlrev_b64 v[2:3], 1, v[2:3]
	v_mov_b32_e32 v23, v19
	v_add_co_ci_u32_e32 v6, vcc_lo, 0, v1, vcc_lo
	v_cmp_gt_i64_e64 s3, s[16:17], v[20:21]
	v_add3_u32 v5, v5, v7, v8
	v_add_co_u32 v21, vcc_lo, v2, v13
	v_cmp_gt_i64_e64 s2, s[16:17], v[22:23]
	v_mul_lo_u32 v8, s23, v9
	v_mul_lo_u32 v10, s22, v6
	v_mad_u64_u32 v[6:7], null, s22, v9, 0
	v_add_co_ci_u32_e32 v23, vcc_lo, 0, v3, vcc_lo
	v_add_co_u32 v9, vcc_lo, 0xc0, v0
	v_lshlrev_b64 v[2:3], 1, v[4:5]
	v_add_co_ci_u32_e32 v4, vcc_lo, 0, v1, vcc_lo
	v_lshlrev_b64 v[0:1], 1, v[0:1]
	v_mov_b32_e32 v25, v19
	v_add3_u32 v7, v7, v10, v8
	v_mul_lo_u32 v10, s23, v9
	v_or_b32_e32 v12, 6, v13
	v_mul_lo_u32 v14, s22, v4
	v_mad_u64_u32 v[4:5], null, s22, v9, 0
	v_cmp_gt_i64_e64 s1, s[16:17], v[24:25]
	s_delay_alu instid0(VALU_DEP_4)
	v_mad_u64_u32 v[25:26], null, s22, v12, v[0:1]
	v_add_co_u32 v32, vcc_lo, v2, v13
	v_add_co_ci_u32_e32 v33, vcc_lo, 0, v3, vcc_lo
	v_add3_u32 v5, v5, v14, v10
	v_or_b32_e32 v14, 4, v13
	v_lshlrev_b64 v[2:3], 1, v[6:7]
	v_mov_b32_e32 v6, v26
	v_mad_u64_u32 v[8:9], null, s22, v11, 0
	s_delay_alu instid0(VALU_DEP_4) | instskip(NEXT) | instid1(VALU_DEP_4)
	v_mad_u64_u32 v[26:27], null, s22, v14, v[0:1]
	v_add_co_u32 v34, vcc_lo, v2, v13
	v_add_co_ci_u32_e32 v35, vcc_lo, 0, v3, vcc_lo
	v_lshlrev_b64 v[2:3], 1, v[4:5]
	s_delay_alu instid0(VALU_DEP_4) | instskip(SKIP_3) | instid1(VALU_DEP_3)
	v_dual_mov_b32 v7, v9 :: v_dual_mov_b32 v4, v27
	v_or_b32_e32 v15, 2, v13
	v_cmp_gt_i64_e64 s0, s[16:17], v[18:19]
	s_cmp_lg_u32 s28, 1
	v_mad_u64_u32 v[9:10], null, s23, v11, v[7:8]
	s_delay_alu instid0(VALU_DEP_3) | instskip(SKIP_2) | instid1(VALU_DEP_3)
	v_mad_u64_u32 v[28:29], null, s22, v15, v[0:1]
	v_mad_u64_u32 v[10:11], null, s23, v12, v[6:7]
	v_add_co_u32 v27, vcc_lo, v2, v13
	v_mov_b32_e32 v5, v29
	v_add_co_ci_u32_e32 v29, vcc_lo, 0, v3, vcc_lo
	s_delay_alu instid0(VALU_DEP_4) | instskip(NEXT) | instid1(VALU_DEP_3)
	v_mov_b32_e32 v36, v10
	v_mad_u64_u32 v[6:7], null, s23, v14, v[4:5]
	s_delay_alu instid0(VALU_DEP_1) | instskip(SKIP_2) | instid1(VALU_DEP_2)
	v_mad_u64_u32 v[11:12], null, s23, v15, v[5:6]
	v_lshlrev_b64 v[4:5], 3, v[8:9]
	v_mov_b32_e32 v37, v6
	v_add_co_u32 v39, vcc_lo, v4, v0
	s_delay_alu instid0(VALU_DEP_3)
	v_add_co_ci_u32_e32 v40, vcc_lo, v5, v1, vcc_lo
	v_mov_b32_e32 v0, s8
	v_mov_b32_e32 v4, s12
	v_dual_mov_b32 v38, v11 :: v_dual_mov_b32 v1, s9
	v_mov_b32_e32 v6, s14
	v_dual_mov_b32 v2, s10 :: v_dual_mov_b32 v3, s11
	v_mov_b32_e32 v5, s13
	v_mov_b32_e32 v7, s15
	s_cselect_b32 s9, -1, 0
	s_lshl_b64 s[10:11], s[22:23], 7
	s_branch .LBB26_4
.LBB26_2:                               ;   in Loop: Header=BB26_4 Depth=1
	s_delay_alu instid0(VALU_DEP_1) | instskip(NEXT) | instid1(VALU_DEP_3)
	v_dual_mov_b32 v0, v8 :: v_dual_mov_b32 v1, v9
	v_dual_mov_b32 v2, v10 :: v_dual_mov_b32 v3, v11
	;; [unrolled: 1-line block ×4, first 2 shown]
.LBB26_3:                               ;   in Loop: Header=BB26_4 Depth=1
	s_or_b32 exec_lo, exec_lo, s4
	v_add_co_u32 v16, vcc_lo, v16, 64
	v_add_co_ci_u32_e32 v17, vcc_lo, 0, v17, vcc_lo
	v_add_co_u32 v21, vcc_lo, 0x80, v21
	v_add_co_ci_u32_e32 v23, vcc_lo, 0, v23, vcc_lo
	;; [unrolled: 2-line block ×8, first 2 shown]
	v_cmp_le_i64_e32 vcc_lo, s[26:27], v[16:17]
	v_add_co_u32 v39, s4, v39, s10
	s_delay_alu instid0(VALU_DEP_1) | instskip(SKIP_1) | instid1(SALU_CYCLE_1)
	v_add_co_ci_u32_e64 v40, s4, s11, v40, s4
	s_or_b32 s8, vcc_lo, s8
	s_and_not1_b32 exec_lo, exec_lo, s8
	s_cbranch_execz .LBB26_27
.LBB26_4:                               ; =>This Inner Loop Header: Depth=1
	s_and_saveexec_b32 s4, s0
	s_cbranch_execnz .LBB26_8
; %bb.5:                                ;   in Loop: Header=BB26_4 Depth=1
	s_or_b32 exec_lo, exec_lo, s4
	s_and_saveexec_b32 s4, s1
	s_cbranch_execnz .LBB26_13
.LBB26_6:                               ;   in Loop: Header=BB26_4 Depth=1
	s_or_b32 exec_lo, exec_lo, s4
	s_and_saveexec_b32 s4, s2
	s_cbranch_execnz .LBB26_18
.LBB26_7:                               ;   in Loop: Header=BB26_4 Depth=1
	s_or_b32 exec_lo, exec_lo, s4
	s_and_saveexec_b32 s4, s3
	s_cbranch_execz .LBB26_3
	s_branch .LBB26_23
.LBB26_8:                               ;   in Loop: Header=BB26_4 Depth=1
	s_and_not1_b32 vcc_lo, exec_lo, s9
	s_cbranch_vccnz .LBB26_10
; %bb.9:                                ;   in Loop: Header=BB26_4 Depth=1
	v_add_co_u32 v8, vcc_lo, s20, v21
	v_add_co_ci_u32_e32 v9, vcc_lo, s21, v23, vcc_lo
	v_add_co_u32 v10, vcc_lo, v0, 1
	v_add_co_ci_u32_e32 v11, vcc_lo, 0, v1, vcc_lo
	global_load_b64 v[8:9], v[8:9], off
	v_mov_b32_e32 v14, v6
	s_waitcnt vmcnt(0)
	v_cmp_neq_f16_e32 vcc_lo, 0, v8
	v_lshrrev_b32_e32 v8, 16, v8
	v_dual_cndmask_b32 v11, v1, v11 :: v_dual_cndmask_b32 v10, v0, v10
	s_delay_alu instid0(VALU_DEP_1) | instskip(NEXT) | instid1(VALU_DEP_2)
	v_add_co_u32 v12, vcc_lo, v10, 1
	v_add_co_ci_u32_e32 v13, vcc_lo, 0, v11, vcc_lo
	s_delay_alu instid0(VALU_DEP_4) | instskip(NEXT) | instid1(VALU_DEP_3)
	v_cmp_neq_f16_e32 vcc_lo, 0, v8
	v_cndmask_b32_e32 v10, v10, v12, vcc_lo
	s_delay_alu instid0(VALU_DEP_3) | instskip(NEXT) | instid1(VALU_DEP_2)
	v_dual_cndmask_b32 v8, v11, v13 :: v_dual_mov_b32 v13, v5
	v_add_co_u32 v11, vcc_lo, v10, 1
	s_delay_alu instid0(VALU_DEP_2) | instskip(SKIP_2) | instid1(VALU_DEP_3)
	v_add_co_ci_u32_e32 v12, vcc_lo, 0, v8, vcc_lo
	v_cmp_neq_f16_e32 vcc_lo, 0, v9
	v_lshrrev_b32_e32 v9, 16, v9
	v_dual_cndmask_b32 v15, v10, v11 :: v_dual_cndmask_b32 v8, v8, v12
	v_dual_mov_b32 v11, v3 :: v_dual_mov_b32 v12, v4
	s_delay_alu instid0(VALU_DEP_2) | instskip(NEXT) | instid1(VALU_DEP_3)
	v_add_co_u32 v41, vcc_lo, v15, 1
	v_add_co_ci_u32_e32 v42, vcc_lo, 0, v8, vcc_lo
	v_cmp_neq_f16_e32 vcc_lo, 0, v9
	s_delay_alu instid0(VALU_DEP_2) | instskip(NEXT) | instid1(VALU_DEP_4)
	v_dual_mov_b32 v10, v2 :: v_dual_cndmask_b32 v9, v8, v42
	v_cndmask_b32_e32 v8, v15, v41, vcc_lo
	v_mov_b32_e32 v15, v7
	s_cbranch_execz .LBB26_11
	s_branch .LBB26_12
.LBB26_10:                              ;   in Loop: Header=BB26_4 Depth=1
                                        ; implicit-def: $vgpr8_vgpr9_vgpr10_vgpr11_vgpr12_vgpr13_vgpr14_vgpr15
.LBB26_11:                              ;   in Loop: Header=BB26_4 Depth=1
	v_add_co_u32 v8, vcc_lo, s20, v39
	v_add_co_ci_u32_e32 v9, vcc_lo, s21, v40, vcc_lo
	global_load_u16 v10, v[8:9], off
	v_add_co_u32 v8, vcc_lo, s20, v28
	v_add_co_ci_u32_e32 v9, vcc_lo, s21, v38, vcc_lo
	global_load_u16 v11, v[8:9], off
	;; [unrolled: 3-line block ×4, first 2 shown]
	v_add_co_u32 v9, vcc_lo, v0, 1
	v_add_co_ci_u32_e32 v13, vcc_lo, 0, v1, vcc_lo
	s_waitcnt vmcnt(3)
	v_cmp_neq_f16_e32 vcc_lo, 0, v10
	s_delay_alu instid0(VALU_DEP_2) | instskip(SKIP_1) | instid1(VALU_DEP_1)
	v_cndmask_b32_e32 v1, v1, v13, vcc_lo
	v_cndmask_b32_e32 v0, v0, v9, vcc_lo
	v_add_co_u32 v9, vcc_lo, v0, 1
	s_delay_alu instid0(VALU_DEP_3) | instskip(SKIP_2) | instid1(VALU_DEP_2)
	v_add_co_ci_u32_e32 v10, vcc_lo, 0, v1, vcc_lo
	s_waitcnt vmcnt(2)
	v_cmp_neq_f16_e32 vcc_lo, 0, v11
	v_dual_cndmask_b32 v1, v1, v10 :: v_dual_cndmask_b32 v0, v0, v9
	s_delay_alu instid0(VALU_DEP_1) | instskip(NEXT) | instid1(VALU_DEP_2)
	v_add_co_u32 v9, vcc_lo, v0, 1
	v_add_co_ci_u32_e32 v10, vcc_lo, 0, v1, vcc_lo
	s_waitcnt vmcnt(1)
	v_cmp_neq_f16_e32 vcc_lo, 0, v12
	s_delay_alu instid0(VALU_DEP_2) | instskip(NEXT) | instid1(VALU_DEP_1)
	v_dual_cndmask_b32 v1, v1, v10 :: v_dual_cndmask_b32 v0, v0, v9
	v_add_co_u32 v9, vcc_lo, v0, 1
	s_delay_alu instid0(VALU_DEP_2) | instskip(SKIP_2) | instid1(VALU_DEP_2)
	v_add_co_ci_u32_e32 v10, vcc_lo, 0, v1, vcc_lo
	s_waitcnt vmcnt(0)
	v_cmp_neq_f16_e32 vcc_lo, 0, v8
	v_dual_cndmask_b32 v1, v1, v10 :: v_dual_cndmask_b32 v0, v0, v9
	v_dual_mov_b32 v15, v7 :: v_dual_mov_b32 v14, v6
	v_dual_mov_b32 v13, v5 :: v_dual_mov_b32 v12, v4
	;; [unrolled: 1-line block ×3, first 2 shown]
	s_delay_alu instid0(VALU_DEP_4)
	v_dual_mov_b32 v9, v1 :: v_dual_mov_b32 v8, v0
.LBB26_12:                              ;   in Loop: Header=BB26_4 Depth=1
	s_delay_alu instid0(VALU_DEP_1) | instskip(NEXT) | instid1(VALU_DEP_3)
	v_dual_mov_b32 v0, v8 :: v_dual_mov_b32 v1, v9
	v_dual_mov_b32 v2, v10 :: v_dual_mov_b32 v3, v11
	;; [unrolled: 1-line block ×4, first 2 shown]
	s_or_b32 exec_lo, exec_lo, s4
	s_and_saveexec_b32 s4, s1
	s_cbranch_execz .LBB26_6
.LBB26_13:                              ;   in Loop: Header=BB26_4 Depth=1
	s_and_not1_b32 vcc_lo, exec_lo, s9
	s_cbranch_vccnz .LBB26_15
; %bb.14:                               ;   in Loop: Header=BB26_4 Depth=1
	v_add_co_u32 v8, vcc_lo, s20, v32
	v_add_co_ci_u32_e32 v9, vcc_lo, s21, v33, vcc_lo
	v_mov_b32_e32 v14, v6
	global_load_b64 v[9:10], v[8:9], off
	v_add_co_u32 v8, vcc_lo, v2, 1
	v_add_co_ci_u32_e32 v11, vcc_lo, 0, v3, vcc_lo
	s_waitcnt vmcnt(0)
	v_cmp_neq_f16_e32 vcc_lo, 0, v9
	v_lshrrev_b32_e32 v9, 16, v9
	s_delay_alu instid0(VALU_DEP_3) | instskip(NEXT) | instid1(VALU_DEP_1)
	v_dual_cndmask_b32 v11, v3, v11 :: v_dual_cndmask_b32 v8, v2, v8
	v_add_co_u32 v12, vcc_lo, v8, 1
	s_delay_alu instid0(VALU_DEP_2) | instskip(NEXT) | instid1(VALU_DEP_4)
	v_add_co_ci_u32_e32 v13, vcc_lo, 0, v11, vcc_lo
	v_cmp_neq_f16_e32 vcc_lo, 0, v9
	s_delay_alu instid0(VALU_DEP_2) | instskip(SKIP_1) | instid1(VALU_DEP_2)
	v_dual_cndmask_b32 v9, v11, v13 :: v_dual_cndmask_b32 v8, v8, v12
	v_mov_b32_e32 v13, v5
	v_add_co_u32 v11, vcc_lo, v8, 1
	s_delay_alu instid0(VALU_DEP_3) | instskip(SKIP_2) | instid1(VALU_DEP_4)
	v_add_co_ci_u32_e32 v12, vcc_lo, 0, v9, vcc_lo
	v_cmp_neq_f16_e32 vcc_lo, 0, v10
	v_lshrrev_b32_e32 v10, 16, v10
	v_cndmask_b32_e32 v41, v8, v11, vcc_lo
	s_delay_alu instid0(VALU_DEP_4) | instskip(SKIP_1) | instid1(VALU_DEP_3)
	v_dual_cndmask_b32 v15, v9, v12 :: v_dual_mov_b32 v8, v0
	v_dual_mov_b32 v9, v1 :: v_dual_mov_b32 v12, v4
	v_add_co_u32 v42, vcc_lo, v41, 1
	s_delay_alu instid0(VALU_DEP_3) | instskip(SKIP_1) | instid1(VALU_DEP_2)
	v_add_co_ci_u32_e32 v11, vcc_lo, 0, v15, vcc_lo
	v_cmp_neq_f16_e32 vcc_lo, 0, v10
	v_dual_cndmask_b32 v11, v15, v11 :: v_dual_cndmask_b32 v10, v41, v42
	v_mov_b32_e32 v15, v7
	s_cbranch_execz .LBB26_16
	s_branch .LBB26_17
.LBB26_15:                              ;   in Loop: Header=BB26_4 Depth=1
                                        ; implicit-def: $vgpr8_vgpr9_vgpr10_vgpr11_vgpr12_vgpr13_vgpr14_vgpr15
.LBB26_16:                              ;   in Loop: Header=BB26_4 Depth=1
	v_add_co_u32 v8, vcc_lo, s20, v39
	v_add_co_ci_u32_e32 v9, vcc_lo, s21, v40, vcc_lo
	global_load_u16 v10, v[8:9], off offset:128
	v_add_co_u32 v8, vcc_lo, s20, v28
	v_add_co_ci_u32_e32 v9, vcc_lo, s21, v38, vcc_lo
	global_load_u16 v11, v[8:9], off offset:128
	;; [unrolled: 3-line block ×4, first 2 shown]
	v_add_co_u32 v9, vcc_lo, v2, 1
	v_add_co_ci_u32_e32 v13, vcc_lo, 0, v3, vcc_lo
	s_waitcnt vmcnt(3)
	v_cmp_neq_f16_e32 vcc_lo, 0, v10
	s_delay_alu instid0(VALU_DEP_2) | instskip(SKIP_1) | instid1(VALU_DEP_1)
	v_cndmask_b32_e32 v3, v3, v13, vcc_lo
	v_cndmask_b32_e32 v2, v2, v9, vcc_lo
	v_add_co_u32 v9, vcc_lo, v2, 1
	s_delay_alu instid0(VALU_DEP_3) | instskip(SKIP_2) | instid1(VALU_DEP_2)
	v_add_co_ci_u32_e32 v10, vcc_lo, 0, v3, vcc_lo
	s_waitcnt vmcnt(2)
	v_cmp_neq_f16_e32 vcc_lo, 0, v11
	v_dual_cndmask_b32 v3, v3, v10 :: v_dual_cndmask_b32 v2, v2, v9
	s_delay_alu instid0(VALU_DEP_1) | instskip(NEXT) | instid1(VALU_DEP_2)
	v_add_co_u32 v9, vcc_lo, v2, 1
	v_add_co_ci_u32_e32 v10, vcc_lo, 0, v3, vcc_lo
	s_waitcnt vmcnt(1)
	v_cmp_neq_f16_e32 vcc_lo, 0, v12
	s_delay_alu instid0(VALU_DEP_2) | instskip(NEXT) | instid1(VALU_DEP_1)
	v_dual_cndmask_b32 v3, v3, v10 :: v_dual_cndmask_b32 v2, v2, v9
	v_add_co_u32 v9, vcc_lo, v2, 1
	s_delay_alu instid0(VALU_DEP_2) | instskip(SKIP_2) | instid1(VALU_DEP_2)
	v_add_co_ci_u32_e32 v10, vcc_lo, 0, v3, vcc_lo
	s_waitcnt vmcnt(0)
	v_cmp_neq_f16_e32 vcc_lo, 0, v8
	v_dual_cndmask_b32 v3, v3, v10 :: v_dual_cndmask_b32 v2, v2, v9
	v_dual_mov_b32 v15, v7 :: v_dual_mov_b32 v14, v6
	v_dual_mov_b32 v13, v5 :: v_dual_mov_b32 v12, v4
	s_delay_alu instid0(VALU_DEP_3)
	v_dual_mov_b32 v11, v3 :: v_dual_mov_b32 v10, v2
	v_dual_mov_b32 v9, v1 :: v_dual_mov_b32 v8, v0
.LBB26_17:                              ;   in Loop: Header=BB26_4 Depth=1
	s_delay_alu instid0(VALU_DEP_1) | instskip(NEXT) | instid1(VALU_DEP_3)
	v_dual_mov_b32 v0, v8 :: v_dual_mov_b32 v1, v9
	v_dual_mov_b32 v2, v10 :: v_dual_mov_b32 v3, v11
	;; [unrolled: 1-line block ×4, first 2 shown]
	s_or_b32 exec_lo, exec_lo, s4
	s_and_saveexec_b32 s4, s2
	s_cbranch_execz .LBB26_7
.LBB26_18:                              ;   in Loop: Header=BB26_4 Depth=1
	s_and_not1_b32 vcc_lo, exec_lo, s9
	s_cbranch_vccnz .LBB26_20
; %bb.19:                               ;   in Loop: Header=BB26_4 Depth=1
	v_add_co_u32 v8, vcc_lo, s20, v34
	v_add_co_ci_u32_e32 v9, vcc_lo, s21, v35, vcc_lo
	global_load_b64 v[9:10], v[8:9], off
	v_add_co_u32 v8, vcc_lo, v4, 1
	v_add_co_ci_u32_e32 v11, vcc_lo, 0, v5, vcc_lo
	s_waitcnt vmcnt(0)
	v_cmp_neq_f16_e32 vcc_lo, 0, v9
	v_lshrrev_b32_e32 v9, 16, v9
	s_delay_alu instid0(VALU_DEP_3) | instskip(NEXT) | instid1(VALU_DEP_1)
	v_dual_cndmask_b32 v11, v5, v11 :: v_dual_cndmask_b32 v8, v4, v8
	v_add_co_u32 v12, vcc_lo, v8, 1
	s_delay_alu instid0(VALU_DEP_2) | instskip(NEXT) | instid1(VALU_DEP_4)
	v_add_co_ci_u32_e32 v13, vcc_lo, 0, v11, vcc_lo
	v_cmp_neq_f16_e32 vcc_lo, 0, v9
	s_delay_alu instid0(VALU_DEP_2) | instskip(NEXT) | instid1(VALU_DEP_1)
	v_dual_cndmask_b32 v9, v11, v13 :: v_dual_cndmask_b32 v8, v8, v12
	v_add_co_u32 v11, vcc_lo, v8, 1
	s_delay_alu instid0(VALU_DEP_2) | instskip(SKIP_2) | instid1(VALU_DEP_3)
	v_add_co_ci_u32_e32 v12, vcc_lo, 0, v9, vcc_lo
	v_cmp_neq_f16_e32 vcc_lo, 0, v10
	v_lshrrev_b32_e32 v10, 16, v10
	v_dual_cndmask_b32 v12, v9, v12 :: v_dual_cndmask_b32 v15, v8, v11
	v_dual_mov_b32 v8, v0 :: v_dual_mov_b32 v9, v1
	v_mov_b32_e32 v11, v3
	s_delay_alu instid0(VALU_DEP_3) | instskip(NEXT) | instid1(VALU_DEP_4)
	v_add_co_u32 v41, vcc_lo, v15, 1
	v_add_co_ci_u32_e32 v13, vcc_lo, 0, v12, vcc_lo
	v_cmp_neq_f16_e32 vcc_lo, 0, v10
	v_mov_b32_e32 v10, v2
	s_delay_alu instid0(VALU_DEP_3)
	v_dual_mov_b32 v14, v6 :: v_dual_cndmask_b32 v13, v12, v13
	v_cndmask_b32_e32 v12, v15, v41, vcc_lo
	v_mov_b32_e32 v15, v7
	s_cbranch_execz .LBB26_21
	s_branch .LBB26_22
.LBB26_20:                              ;   in Loop: Header=BB26_4 Depth=1
                                        ; implicit-def: $vgpr8_vgpr9_vgpr10_vgpr11_vgpr12_vgpr13_vgpr14_vgpr15
.LBB26_21:                              ;   in Loop: Header=BB26_4 Depth=1
	v_add_co_u32 v8, vcc_lo, s20, v39
	v_add_co_ci_u32_e32 v9, vcc_lo, s21, v40, vcc_lo
	global_load_u16 v10, v[8:9], off offset:256
	v_add_co_u32 v8, vcc_lo, s20, v28
	v_add_co_ci_u32_e32 v9, vcc_lo, s21, v38, vcc_lo
	global_load_u16 v11, v[8:9], off offset:256
	;; [unrolled: 3-line block ×4, first 2 shown]
	v_add_co_u32 v9, vcc_lo, v4, 1
	v_add_co_ci_u32_e32 v13, vcc_lo, 0, v5, vcc_lo
	s_waitcnt vmcnt(3)
	v_cmp_neq_f16_e32 vcc_lo, 0, v10
	s_delay_alu instid0(VALU_DEP_2) | instskip(SKIP_1) | instid1(VALU_DEP_1)
	v_cndmask_b32_e32 v5, v5, v13, vcc_lo
	v_cndmask_b32_e32 v4, v4, v9, vcc_lo
	v_add_co_u32 v9, vcc_lo, v4, 1
	s_delay_alu instid0(VALU_DEP_3) | instskip(SKIP_2) | instid1(VALU_DEP_2)
	v_add_co_ci_u32_e32 v10, vcc_lo, 0, v5, vcc_lo
	s_waitcnt vmcnt(2)
	v_cmp_neq_f16_e32 vcc_lo, 0, v11
	v_dual_cndmask_b32 v5, v5, v10 :: v_dual_cndmask_b32 v4, v4, v9
	s_delay_alu instid0(VALU_DEP_1) | instskip(NEXT) | instid1(VALU_DEP_2)
	v_add_co_u32 v9, vcc_lo, v4, 1
	v_add_co_ci_u32_e32 v10, vcc_lo, 0, v5, vcc_lo
	s_waitcnt vmcnt(1)
	v_cmp_neq_f16_e32 vcc_lo, 0, v12
	s_delay_alu instid0(VALU_DEP_2) | instskip(NEXT) | instid1(VALU_DEP_1)
	v_dual_cndmask_b32 v5, v5, v10 :: v_dual_cndmask_b32 v4, v4, v9
	v_add_co_u32 v9, vcc_lo, v4, 1
	s_delay_alu instid0(VALU_DEP_2) | instskip(SKIP_2) | instid1(VALU_DEP_2)
	v_add_co_ci_u32_e32 v10, vcc_lo, 0, v5, vcc_lo
	s_waitcnt vmcnt(0)
	v_cmp_neq_f16_e32 vcc_lo, 0, v8
	v_dual_cndmask_b32 v5, v5, v10 :: v_dual_cndmask_b32 v4, v4, v9
	v_dual_mov_b32 v15, v7 :: v_dual_mov_b32 v14, v6
	v_dual_mov_b32 v11, v3 :: v_dual_mov_b32 v10, v2
	s_delay_alu instid0(VALU_DEP_3)
	v_dual_mov_b32 v13, v5 :: v_dual_mov_b32 v12, v4
	v_dual_mov_b32 v9, v1 :: v_dual_mov_b32 v8, v0
.LBB26_22:                              ;   in Loop: Header=BB26_4 Depth=1
	s_delay_alu instid0(VALU_DEP_1) | instskip(NEXT) | instid1(VALU_DEP_4)
	v_dual_mov_b32 v0, v8 :: v_dual_mov_b32 v1, v9
	v_dual_mov_b32 v2, v10 :: v_dual_mov_b32 v3, v11
	s_delay_alu instid0(VALU_DEP_4)
	v_dual_mov_b32 v4, v12 :: v_dual_mov_b32 v5, v13
	v_dual_mov_b32 v6, v14 :: v_dual_mov_b32 v7, v15
	s_or_b32 exec_lo, exec_lo, s4
	s_and_saveexec_b32 s4, s3
	s_cbranch_execz .LBB26_3
.LBB26_23:                              ;   in Loop: Header=BB26_4 Depth=1
	s_and_not1_b32 vcc_lo, exec_lo, s9
	s_cbranch_vccnz .LBB26_25
; %bb.24:                               ;   in Loop: Header=BB26_4 Depth=1
	v_add_co_u32 v8, vcc_lo, s20, v27
	v_add_co_ci_u32_e32 v9, vcc_lo, s21, v29, vcc_lo
	global_load_b64 v[9:10], v[8:9], off
	v_add_co_u32 v8, vcc_lo, v6, 1
	v_add_co_ci_u32_e32 v11, vcc_lo, 0, v7, vcc_lo
	s_waitcnt vmcnt(0)
	v_cmp_neq_f16_e32 vcc_lo, 0, v9
	v_lshrrev_b32_e32 v9, 16, v9
	s_delay_alu instid0(VALU_DEP_3) | instskip(NEXT) | instid1(VALU_DEP_1)
	v_dual_cndmask_b32 v11, v7, v11 :: v_dual_cndmask_b32 v8, v6, v8
	v_add_co_u32 v12, vcc_lo, v8, 1
	s_delay_alu instid0(VALU_DEP_2) | instskip(NEXT) | instid1(VALU_DEP_4)
	v_add_co_ci_u32_e32 v13, vcc_lo, 0, v11, vcc_lo
	v_cmp_neq_f16_e32 vcc_lo, 0, v9
	s_delay_alu instid0(VALU_DEP_2) | instskip(NEXT) | instid1(VALU_DEP_1)
	v_dual_cndmask_b32 v9, v11, v13 :: v_dual_cndmask_b32 v8, v8, v12
	v_add_co_u32 v11, vcc_lo, v8, 1
	s_delay_alu instid0(VALU_DEP_2) | instskip(SKIP_2) | instid1(VALU_DEP_3)
	v_add_co_ci_u32_e32 v12, vcc_lo, 0, v9, vcc_lo
	v_cmp_neq_f16_e32 vcc_lo, 0, v10
	v_lshrrev_b32_e32 v10, 16, v10
	v_dual_cndmask_b32 v13, v9, v12 :: v_dual_cndmask_b32 v14, v8, v11
	v_dual_mov_b32 v8, v0 :: v_dual_mov_b32 v9, v1
	v_mov_b32_e32 v11, v3
	s_delay_alu instid0(VALU_DEP_3) | instskip(NEXT) | instid1(VALU_DEP_4)
	v_add_co_u32 v41, vcc_lo, v14, 1
	v_add_co_ci_u32_e32 v15, vcc_lo, 0, v13, vcc_lo
	v_cmp_neq_f16_e32 vcc_lo, 0, v10
	v_mov_b32_e32 v10, v2
	s_delay_alu instid0(VALU_DEP_3)
	v_dual_mov_b32 v12, v4 :: v_dual_cndmask_b32 v15, v13, v15
	v_dual_cndmask_b32 v14, v14, v41 :: v_dual_mov_b32 v13, v5
	s_cbranch_execnz .LBB26_2
	s_branch .LBB26_26
.LBB26_25:                              ;   in Loop: Header=BB26_4 Depth=1
                                        ; implicit-def: $vgpr8_vgpr9_vgpr10_vgpr11_vgpr12_vgpr13_vgpr14_vgpr15
.LBB26_26:                              ;   in Loop: Header=BB26_4 Depth=1
	v_add_co_u32 v8, vcc_lo, s20, v39
	v_add_co_ci_u32_e32 v9, vcc_lo, s21, v40, vcc_lo
	global_load_u16 v10, v[8:9], off offset:384
	v_add_co_u32 v8, vcc_lo, s20, v28
	v_add_co_ci_u32_e32 v9, vcc_lo, s21, v38, vcc_lo
	global_load_u16 v11, v[8:9], off offset:384
	;; [unrolled: 3-line block ×4, first 2 shown]
	v_add_co_u32 v9, vcc_lo, v6, 1
	v_add_co_ci_u32_e32 v13, vcc_lo, 0, v7, vcc_lo
	s_waitcnt vmcnt(3)
	v_cmp_neq_f16_e32 vcc_lo, 0, v10
	s_delay_alu instid0(VALU_DEP_2) | instskip(SKIP_1) | instid1(VALU_DEP_1)
	v_cndmask_b32_e32 v7, v7, v13, vcc_lo
	v_cndmask_b32_e32 v6, v6, v9, vcc_lo
	v_add_co_u32 v9, vcc_lo, v6, 1
	s_delay_alu instid0(VALU_DEP_3) | instskip(SKIP_2) | instid1(VALU_DEP_2)
	v_add_co_ci_u32_e32 v10, vcc_lo, 0, v7, vcc_lo
	s_waitcnt vmcnt(2)
	v_cmp_neq_f16_e32 vcc_lo, 0, v11
	v_dual_cndmask_b32 v7, v7, v10 :: v_dual_cndmask_b32 v6, v6, v9
	s_delay_alu instid0(VALU_DEP_1) | instskip(NEXT) | instid1(VALU_DEP_2)
	v_add_co_u32 v9, vcc_lo, v6, 1
	v_add_co_ci_u32_e32 v10, vcc_lo, 0, v7, vcc_lo
	s_waitcnt vmcnt(1)
	v_cmp_neq_f16_e32 vcc_lo, 0, v12
	s_delay_alu instid0(VALU_DEP_2) | instskip(NEXT) | instid1(VALU_DEP_1)
	v_dual_cndmask_b32 v7, v7, v10 :: v_dual_cndmask_b32 v6, v6, v9
	v_add_co_u32 v9, vcc_lo, v6, 1
	s_delay_alu instid0(VALU_DEP_2) | instskip(SKIP_2) | instid1(VALU_DEP_2)
	v_add_co_ci_u32_e32 v10, vcc_lo, 0, v7, vcc_lo
	s_waitcnt vmcnt(0)
	v_cmp_neq_f16_e32 vcc_lo, 0, v8
	v_dual_cndmask_b32 v7, v7, v10 :: v_dual_cndmask_b32 v6, v6, v9
	s_delay_alu instid0(VALU_DEP_1)
	v_dual_mov_b32 v15, v7 :: v_dual_mov_b32 v14, v6
	v_dual_mov_b32 v13, v5 :: v_dual_mov_b32 v12, v4
	;; [unrolled: 1-line block ×4, first 2 shown]
	s_branch .LBB26_2
.LBB26_27:
	s_or_b32 exec_lo, exec_lo, s8
.LBB26_28:
	s_delay_alu instid0(SALU_CYCLE_1) | instskip(SKIP_1) | instid1(VALU_DEP_1)
	s_or_b32 exec_lo, exec_lo, s29
	v_cmp_lt_i64_e64 s0, s[24:25], 1
	s_and_b32 vcc_lo, exec_lo, s0
	s_cbranch_vccnz .LBB26_126
; %bb.29:
	v_lshlrev_b64 v[8:9], 1, v[16:17]
	s_cmp_eq_u32 s28, 1
	s_mov_b32 s3, exec_lo
	s_cselect_b32 s2, -1, 0
	s_cmp_lg_u32 s28, 1
	s_cselect_b32 s1, -1, 0
	v_add_co_u32 v26, s0, s20, v8
	s_delay_alu instid0(VALU_DEP_1)
	v_add_co_ci_u32_e64 v27, s0, s21, v9, s0
	v_lshlrev_b64 v[8:9], 1, v[18:19]
	v_cmpx_gt_i64_e64 s[16:17], v[18:19]
	s_cbranch_execz .LBB26_53
; %bb.30:
	v_mad_u64_u32 v[10:11], null, v18, s22, 0
	s_delay_alu instid0(VALU_DEP_1) | instskip(NEXT) | instid1(VALU_DEP_1)
	v_mad_u64_u32 v[12:13], null, v18, s23, v[11:12]
	v_mov_b32_e32 v11, v12
	s_delay_alu instid0(VALU_DEP_1) | instskip(NEXT) | instid1(VALU_DEP_1)
	v_lshlrev_b64 v[10:11], 1, v[10:11]
	v_add_co_u32 v10, s0, v26, v10
	s_delay_alu instid0(VALU_DEP_1) | instskip(SKIP_1) | instid1(VALU_DEP_1)
	v_add_co_ci_u32_e64 v11, s0, v27, v11, s0
	v_add_co_u32 v18, s0, s20, v8
	v_add_co_ci_u32_e64 v21, s0, s21, v9, s0
	s_mov_b32 s0, exec_lo
	v_cmpx_gt_i64_e64 s[18:19], v[16:17]
	s_cbranch_execz .LBB26_34
; %bb.31:
	v_dual_mov_b32 v13, v11 :: v_dual_mov_b32 v12, v10
	s_and_not1_b32 vcc_lo, exec_lo, s2
	s_cbranch_vccnz .LBB26_33
; %bb.32:
	v_mul_lo_u32 v14, v17, s22
	v_mul_lo_u32 v15, v16, s23
	v_mad_u64_u32 v[12:13], null, v16, s22, 0
	s_delay_alu instid0(VALU_DEP_1) | instskip(NEXT) | instid1(VALU_DEP_1)
	v_add3_u32 v13, v13, v15, v14
	v_lshlrev_b64 v[12:13], 1, v[12:13]
	s_delay_alu instid0(VALU_DEP_1) | instskip(NEXT) | instid1(VALU_DEP_2)
	v_add_co_u32 v12, vcc_lo, v18, v12
	v_add_co_ci_u32_e32 v13, vcc_lo, v21, v13, vcc_lo
.LBB26_33:
	global_load_u16 v12, v[12:13], off
	s_waitcnt vmcnt(0)
	v_cmp_neq_f16_e32 vcc_lo, 0, v12
	v_cndmask_b32_e64 v12, 0, 1, vcc_lo
	s_delay_alu instid0(VALU_DEP_1)
	v_add_co_u32 v0, vcc_lo, v0, v12
	v_add_co_ci_u32_e32 v1, vcc_lo, 0, v1, vcc_lo
.LBB26_34:
	s_or_b32 exec_lo, exec_lo, s0
	v_or_b32_e32 v12, 1, v16
	v_mov_b32_e32 v13, v17
	s_mov_b32 s0, exec_lo
	s_delay_alu instid0(VALU_DEP_1)
	v_cmpx_gt_i64_e64 s[18:19], v[12:13]
	s_cbranch_execz .LBB26_40
; %bb.35:
	s_and_not1_b32 vcc_lo, exec_lo, s1
	s_cbranch_vccnz .LBB26_37
; %bb.36:
	v_add_co_u32 v14, vcc_lo, v10, 2
	v_add_co_ci_u32_e32 v15, vcc_lo, 0, v11, vcc_lo
	s_cbranch_execz .LBB26_38
	s_branch .LBB26_39
.LBB26_37:
                                        ; implicit-def: $vgpr14_vgpr15
.LBB26_38:
	v_mul_lo_u32 v15, v13, s22
	v_mul_lo_u32 v23, v12, s23
	v_mad_u64_u32 v[13:14], null, v12, s22, 0
	s_delay_alu instid0(VALU_DEP_1) | instskip(NEXT) | instid1(VALU_DEP_1)
	v_add3_u32 v14, v14, v23, v15
	v_lshlrev_b64 v[12:13], 1, v[13:14]
	s_delay_alu instid0(VALU_DEP_1) | instskip(NEXT) | instid1(VALU_DEP_2)
	v_add_co_u32 v14, vcc_lo, v18, v12
	v_add_co_ci_u32_e32 v15, vcc_lo, v21, v13, vcc_lo
.LBB26_39:
	global_load_u16 v12, v[14:15], off
	s_waitcnt vmcnt(0)
	v_cmp_neq_f16_e32 vcc_lo, 0, v12
	v_cndmask_b32_e64 v12, 0, 1, vcc_lo
	s_delay_alu instid0(VALU_DEP_1)
	v_add_co_u32 v0, vcc_lo, v0, v12
	v_add_co_ci_u32_e32 v1, vcc_lo, 0, v1, vcc_lo
.LBB26_40:
	s_or_b32 exec_lo, exec_lo, s0
	v_or_b32_e32 v12, 2, v16
	v_mov_b32_e32 v13, v17
	s_mov_b32 s0, exec_lo
	s_delay_alu instid0(VALU_DEP_1)
	v_cmpx_gt_i64_e64 s[18:19], v[12:13]
	s_cbranch_execz .LBB26_46
; %bb.41:
	s_and_not1_b32 vcc_lo, exec_lo, s1
	s_cbranch_vccnz .LBB26_43
; %bb.42:
	v_add_co_u32 v14, vcc_lo, v10, 4
	v_add_co_ci_u32_e32 v15, vcc_lo, 0, v11, vcc_lo
	s_cbranch_execz .LBB26_44
	s_branch .LBB26_45
.LBB26_43:
                                        ; implicit-def: $vgpr14_vgpr15
.LBB26_44:
	v_mul_lo_u32 v15, v13, s22
	v_mul_lo_u32 v23, v12, s23
	v_mad_u64_u32 v[13:14], null, v12, s22, 0
	s_delay_alu instid0(VALU_DEP_1) | instskip(NEXT) | instid1(VALU_DEP_1)
	v_add3_u32 v14, v14, v23, v15
	v_lshlrev_b64 v[12:13], 1, v[13:14]
	s_delay_alu instid0(VALU_DEP_1) | instskip(NEXT) | instid1(VALU_DEP_2)
	v_add_co_u32 v14, vcc_lo, v18, v12
	v_add_co_ci_u32_e32 v15, vcc_lo, v21, v13, vcc_lo
.LBB26_45:
	global_load_u16 v12, v[14:15], off
	s_waitcnt vmcnt(0)
	v_cmp_neq_f16_e32 vcc_lo, 0, v12
	v_cndmask_b32_e64 v12, 0, 1, vcc_lo
	s_delay_alu instid0(VALU_DEP_1)
	v_add_co_u32 v0, vcc_lo, v0, v12
	v_add_co_ci_u32_e32 v1, vcc_lo, 0, v1, vcc_lo
.LBB26_46:
	s_or_b32 exec_lo, exec_lo, s0
	v_or_b32_e32 v12, 3, v16
	v_mov_b32_e32 v13, v17
	s_mov_b32 s0, exec_lo
	s_delay_alu instid0(VALU_DEP_1)
	v_cmpx_gt_i64_e64 s[18:19], v[12:13]
	s_cbranch_execz .LBB26_52
; %bb.47:
	s_and_not1_b32 vcc_lo, exec_lo, s1
	s_cbranch_vccnz .LBB26_49
; %bb.48:
	v_add_co_u32 v10, vcc_lo, v10, 6
	v_add_co_ci_u32_e32 v11, vcc_lo, 0, v11, vcc_lo
	s_cbranch_execz .LBB26_50
	s_branch .LBB26_51
.LBB26_49:
                                        ; implicit-def: $vgpr10_vgpr11
.LBB26_50:
	v_mul_lo_u32 v13, v13, s22
	v_mul_lo_u32 v14, v12, s23
	v_mad_u64_u32 v[10:11], null, v12, s22, 0
	s_delay_alu instid0(VALU_DEP_1) | instskip(NEXT) | instid1(VALU_DEP_1)
	v_add3_u32 v11, v11, v14, v13
	v_lshlrev_b64 v[10:11], 1, v[10:11]
	s_delay_alu instid0(VALU_DEP_1) | instskip(NEXT) | instid1(VALU_DEP_2)
	v_add_co_u32 v10, vcc_lo, v18, v10
	v_add_co_ci_u32_e32 v11, vcc_lo, v21, v11, vcc_lo
.LBB26_51:
	global_load_u16 v10, v[10:11], off
	s_waitcnt vmcnt(0)
	v_cmp_neq_f16_e32 vcc_lo, 0, v10
	v_cndmask_b32_e64 v10, 0, 1, vcc_lo
	s_delay_alu instid0(VALU_DEP_1)
	v_add_co_u32 v0, vcc_lo, v0, v10
	v_add_co_ci_u32_e32 v1, vcc_lo, 0, v1, vcc_lo
.LBB26_52:
	s_or_b32 exec_lo, exec_lo, s0
.LBB26_53:
	s_delay_alu instid0(SALU_CYCLE_1) | instskip(SKIP_2) | instid1(VALU_DEP_1)
	s_or_b32 exec_lo, exec_lo, s3
	v_mov_b32_e32 v25, v19
	s_mov_b32 s3, exec_lo
	v_cmpx_gt_i64_e64 s[16:17], v[24:25]
	s_cbranch_execz .LBB26_77
; %bb.54:
	v_mad_u64_u32 v[10:11], null, v24, s22, 0
	s_delay_alu instid0(VALU_DEP_1) | instskip(NEXT) | instid1(VALU_DEP_1)
	v_mad_u64_u32 v[12:13], null, v24, s23, v[11:12]
	v_mov_b32_e32 v11, v12
	s_delay_alu instid0(VALU_DEP_1) | instskip(NEXT) | instid1(VALU_DEP_1)
	v_lshlrev_b64 v[10:11], 1, v[10:11]
	v_add_co_u32 v10, s0, v26, v10
	s_delay_alu instid0(VALU_DEP_1) | instskip(SKIP_1) | instid1(VALU_DEP_1)
	v_add_co_ci_u32_e64 v11, s0, v27, v11, s0
	v_add_co_u32 v18, s0, s20, v8
	v_add_co_ci_u32_e64 v21, s0, s21, v9, s0
	s_mov_b32 s0, exec_lo
	v_cmpx_gt_i64_e64 s[18:19], v[16:17]
	s_cbranch_execz .LBB26_58
; %bb.55:
	v_dual_mov_b32 v13, v11 :: v_dual_mov_b32 v12, v10
	s_and_not1_b32 vcc_lo, exec_lo, s2
	s_cbranch_vccnz .LBB26_57
; %bb.56:
	v_mul_lo_u32 v14, v17, s22
	v_mul_lo_u32 v15, v16, s23
	v_mad_u64_u32 v[12:13], null, v16, s22, 0
	s_delay_alu instid0(VALU_DEP_1) | instskip(NEXT) | instid1(VALU_DEP_1)
	v_add3_u32 v13, v13, v15, v14
	v_lshlrev_b64 v[12:13], 1, v[12:13]
	s_delay_alu instid0(VALU_DEP_1) | instskip(NEXT) | instid1(VALU_DEP_2)
	v_add_co_u32 v12, vcc_lo, v18, v12
	v_add_co_ci_u32_e32 v13, vcc_lo, v21, v13, vcc_lo
	s_delay_alu instid0(VALU_DEP_2) | instskip(NEXT) | instid1(VALU_DEP_2)
	v_add_co_u32 v12, vcc_lo, 0x80, v12
	v_add_co_ci_u32_e32 v13, vcc_lo, 0, v13, vcc_lo
.LBB26_57:
	global_load_u16 v12, v[12:13], off
	s_waitcnt vmcnt(0)
	v_cmp_neq_f16_e32 vcc_lo, 0, v12
	v_cndmask_b32_e64 v12, 0, 1, vcc_lo
	s_delay_alu instid0(VALU_DEP_1)
	v_add_co_u32 v2, vcc_lo, v2, v12
	v_add_co_ci_u32_e32 v3, vcc_lo, 0, v3, vcc_lo
.LBB26_58:
	s_or_b32 exec_lo, exec_lo, s0
	v_or_b32_e32 v12, 1, v16
	v_mov_b32_e32 v13, v17
	s_mov_b32 s0, exec_lo
	s_delay_alu instid0(VALU_DEP_1)
	v_cmpx_gt_i64_e64 s[18:19], v[12:13]
	s_cbranch_execz .LBB26_64
; %bb.59:
	s_and_not1_b32 vcc_lo, exec_lo, s1
	s_cbranch_vccnz .LBB26_61
; %bb.60:
	v_add_co_u32 v14, vcc_lo, v10, 2
	v_add_co_ci_u32_e32 v15, vcc_lo, 0, v11, vcc_lo
	s_cbranch_execz .LBB26_62
	s_branch .LBB26_63
.LBB26_61:
                                        ; implicit-def: $vgpr14_vgpr15
.LBB26_62:
	v_mul_lo_u32 v15, v13, s22
	v_mul_lo_u32 v23, v12, s23
	v_mad_u64_u32 v[13:14], null, v12, s22, 0
	s_delay_alu instid0(VALU_DEP_1) | instskip(NEXT) | instid1(VALU_DEP_1)
	v_add3_u32 v14, v14, v23, v15
	v_lshlrev_b64 v[12:13], 1, v[13:14]
	s_delay_alu instid0(VALU_DEP_1) | instskip(NEXT) | instid1(VALU_DEP_2)
	v_add_co_u32 v12, vcc_lo, v18, v12
	v_add_co_ci_u32_e32 v13, vcc_lo, v21, v13, vcc_lo
	s_delay_alu instid0(VALU_DEP_2) | instskip(NEXT) | instid1(VALU_DEP_2)
	v_add_co_u32 v14, vcc_lo, 0x80, v12
	v_add_co_ci_u32_e32 v15, vcc_lo, 0, v13, vcc_lo
.LBB26_63:
	global_load_u16 v12, v[14:15], off
	s_waitcnt vmcnt(0)
	v_cmp_neq_f16_e32 vcc_lo, 0, v12
	v_cndmask_b32_e64 v12, 0, 1, vcc_lo
	s_delay_alu instid0(VALU_DEP_1)
	v_add_co_u32 v2, vcc_lo, v2, v12
	v_add_co_ci_u32_e32 v3, vcc_lo, 0, v3, vcc_lo
.LBB26_64:
	s_or_b32 exec_lo, exec_lo, s0
	v_or_b32_e32 v12, 2, v16
	v_mov_b32_e32 v13, v17
	s_mov_b32 s0, exec_lo
	s_delay_alu instid0(VALU_DEP_1)
	v_cmpx_gt_i64_e64 s[18:19], v[12:13]
	s_cbranch_execz .LBB26_70
; %bb.65:
	s_and_not1_b32 vcc_lo, exec_lo, s1
	s_cbranch_vccnz .LBB26_67
; %bb.66:
	v_add_co_u32 v14, vcc_lo, v10, 4
	v_add_co_ci_u32_e32 v15, vcc_lo, 0, v11, vcc_lo
	s_cbranch_execz .LBB26_68
	s_branch .LBB26_69
.LBB26_67:
                                        ; implicit-def: $vgpr14_vgpr15
.LBB26_68:
	v_mul_lo_u32 v15, v13, s22
	v_mul_lo_u32 v23, v12, s23
	v_mad_u64_u32 v[13:14], null, v12, s22, 0
	s_delay_alu instid0(VALU_DEP_1) | instskip(NEXT) | instid1(VALU_DEP_1)
	v_add3_u32 v14, v14, v23, v15
	v_lshlrev_b64 v[12:13], 1, v[13:14]
	s_delay_alu instid0(VALU_DEP_1) | instskip(NEXT) | instid1(VALU_DEP_2)
	v_add_co_u32 v12, vcc_lo, v18, v12
	v_add_co_ci_u32_e32 v13, vcc_lo, v21, v13, vcc_lo
	s_delay_alu instid0(VALU_DEP_2) | instskip(NEXT) | instid1(VALU_DEP_2)
	v_add_co_u32 v14, vcc_lo, 0x80, v12
	v_add_co_ci_u32_e32 v15, vcc_lo, 0, v13, vcc_lo
.LBB26_69:
	global_load_u16 v12, v[14:15], off
	s_waitcnt vmcnt(0)
	v_cmp_neq_f16_e32 vcc_lo, 0, v12
	v_cndmask_b32_e64 v12, 0, 1, vcc_lo
	s_delay_alu instid0(VALU_DEP_1)
	v_add_co_u32 v2, vcc_lo, v2, v12
	v_add_co_ci_u32_e32 v3, vcc_lo, 0, v3, vcc_lo
.LBB26_70:
	s_or_b32 exec_lo, exec_lo, s0
	v_or_b32_e32 v12, 3, v16
	v_mov_b32_e32 v13, v17
	s_mov_b32 s0, exec_lo
	s_delay_alu instid0(VALU_DEP_1)
	v_cmpx_gt_i64_e64 s[18:19], v[12:13]
	s_cbranch_execz .LBB26_76
; %bb.71:
	s_and_not1_b32 vcc_lo, exec_lo, s1
	s_cbranch_vccnz .LBB26_73
; %bb.72:
	v_add_co_u32 v10, vcc_lo, v10, 6
	v_add_co_ci_u32_e32 v11, vcc_lo, 0, v11, vcc_lo
	s_cbranch_execz .LBB26_74
	s_branch .LBB26_75
.LBB26_73:
                                        ; implicit-def: $vgpr10_vgpr11
.LBB26_74:
	v_mul_lo_u32 v13, v13, s22
	v_mul_lo_u32 v14, v12, s23
	v_mad_u64_u32 v[10:11], null, v12, s22, 0
	s_delay_alu instid0(VALU_DEP_1) | instskip(NEXT) | instid1(VALU_DEP_1)
	v_add3_u32 v11, v11, v14, v13
	v_lshlrev_b64 v[10:11], 1, v[10:11]
	s_delay_alu instid0(VALU_DEP_1) | instskip(NEXT) | instid1(VALU_DEP_2)
	v_add_co_u32 v10, vcc_lo, v18, v10
	v_add_co_ci_u32_e32 v11, vcc_lo, v21, v11, vcc_lo
	s_delay_alu instid0(VALU_DEP_2) | instskip(NEXT) | instid1(VALU_DEP_2)
	v_add_co_u32 v10, vcc_lo, 0x80, v10
	v_add_co_ci_u32_e32 v11, vcc_lo, 0, v11, vcc_lo
.LBB26_75:
	global_load_u16 v10, v[10:11], off
	s_waitcnt vmcnt(0)
	v_cmp_neq_f16_e32 vcc_lo, 0, v10
	v_cndmask_b32_e64 v10, 0, 1, vcc_lo
	s_delay_alu instid0(VALU_DEP_1)
	v_add_co_u32 v2, vcc_lo, v2, v10
	v_add_co_ci_u32_e32 v3, vcc_lo, 0, v3, vcc_lo
.LBB26_76:
	s_or_b32 exec_lo, exec_lo, s0
.LBB26_77:
	s_delay_alu instid0(SALU_CYCLE_1) | instskip(SKIP_2) | instid1(VALU_DEP_1)
	s_or_b32 exec_lo, exec_lo, s3
	v_mov_b32_e32 v23, v19
	s_mov_b32 s3, exec_lo
	v_cmpx_gt_i64_e64 s[16:17], v[22:23]
	s_cbranch_execz .LBB26_101
; %bb.78:
	v_mad_u64_u32 v[10:11], null, v22, s22, 0
	s_delay_alu instid0(VALU_DEP_1) | instskip(NEXT) | instid1(VALU_DEP_1)
	v_mad_u64_u32 v[12:13], null, v22, s23, v[11:12]
	v_mov_b32_e32 v11, v12
	s_delay_alu instid0(VALU_DEP_1) | instskip(NEXT) | instid1(VALU_DEP_1)
	v_lshlrev_b64 v[10:11], 1, v[10:11]
	v_add_co_u32 v10, s0, v26, v10
	s_delay_alu instid0(VALU_DEP_1) | instskip(SKIP_1) | instid1(VALU_DEP_1)
	v_add_co_ci_u32_e64 v11, s0, v27, v11, s0
	v_add_co_u32 v18, s0, s20, v8
	v_add_co_ci_u32_e64 v21, s0, s21, v9, s0
	s_mov_b32 s0, exec_lo
	v_cmpx_gt_i64_e64 s[18:19], v[16:17]
	s_cbranch_execz .LBB26_82
; %bb.79:
	v_dual_mov_b32 v13, v11 :: v_dual_mov_b32 v12, v10
	s_and_not1_b32 vcc_lo, exec_lo, s2
	s_cbranch_vccnz .LBB26_81
; %bb.80:
	v_mul_lo_u32 v14, v17, s22
	v_mul_lo_u32 v15, v16, s23
	v_mad_u64_u32 v[12:13], null, v16, s22, 0
	s_delay_alu instid0(VALU_DEP_1) | instskip(NEXT) | instid1(VALU_DEP_1)
	v_add3_u32 v13, v13, v15, v14
	v_lshlrev_b64 v[12:13], 1, v[12:13]
	s_delay_alu instid0(VALU_DEP_1) | instskip(NEXT) | instid1(VALU_DEP_2)
	v_add_co_u32 v12, vcc_lo, v18, v12
	v_add_co_ci_u32_e32 v13, vcc_lo, v21, v13, vcc_lo
	s_delay_alu instid0(VALU_DEP_2) | instskip(NEXT) | instid1(VALU_DEP_2)
	v_add_co_u32 v12, vcc_lo, 0x100, v12
	v_add_co_ci_u32_e32 v13, vcc_lo, 0, v13, vcc_lo
.LBB26_81:
	global_load_u16 v12, v[12:13], off
	s_waitcnt vmcnt(0)
	v_cmp_neq_f16_e32 vcc_lo, 0, v12
	v_cndmask_b32_e64 v12, 0, 1, vcc_lo
	s_delay_alu instid0(VALU_DEP_1)
	v_add_co_u32 v4, vcc_lo, v4, v12
	v_add_co_ci_u32_e32 v5, vcc_lo, 0, v5, vcc_lo
.LBB26_82:
	s_or_b32 exec_lo, exec_lo, s0
	v_or_b32_e32 v12, 1, v16
	v_mov_b32_e32 v13, v17
	s_mov_b32 s0, exec_lo
	s_delay_alu instid0(VALU_DEP_1)
	v_cmpx_gt_i64_e64 s[18:19], v[12:13]
	s_cbranch_execz .LBB26_88
; %bb.83:
	s_and_not1_b32 vcc_lo, exec_lo, s1
	s_cbranch_vccnz .LBB26_85
; %bb.84:
	v_add_co_u32 v14, vcc_lo, v10, 2
	v_add_co_ci_u32_e32 v15, vcc_lo, 0, v11, vcc_lo
	s_cbranch_execz .LBB26_86
	s_branch .LBB26_87
.LBB26_85:
                                        ; implicit-def: $vgpr14_vgpr15
.LBB26_86:
	v_mul_lo_u32 v15, v13, s22
	v_mul_lo_u32 v22, v12, s23
	v_mad_u64_u32 v[13:14], null, v12, s22, 0
	s_delay_alu instid0(VALU_DEP_1) | instskip(NEXT) | instid1(VALU_DEP_1)
	v_add3_u32 v14, v14, v22, v15
	v_lshlrev_b64 v[12:13], 1, v[13:14]
	s_delay_alu instid0(VALU_DEP_1) | instskip(NEXT) | instid1(VALU_DEP_2)
	v_add_co_u32 v12, vcc_lo, v18, v12
	v_add_co_ci_u32_e32 v13, vcc_lo, v21, v13, vcc_lo
	s_delay_alu instid0(VALU_DEP_2) | instskip(NEXT) | instid1(VALU_DEP_2)
	v_add_co_u32 v14, vcc_lo, 0x100, v12
	v_add_co_ci_u32_e32 v15, vcc_lo, 0, v13, vcc_lo
.LBB26_87:
	global_load_u16 v12, v[14:15], off
	s_waitcnt vmcnt(0)
	v_cmp_neq_f16_e32 vcc_lo, 0, v12
	v_cndmask_b32_e64 v12, 0, 1, vcc_lo
	s_delay_alu instid0(VALU_DEP_1)
	v_add_co_u32 v4, vcc_lo, v4, v12
	v_add_co_ci_u32_e32 v5, vcc_lo, 0, v5, vcc_lo
.LBB26_88:
	s_or_b32 exec_lo, exec_lo, s0
	v_or_b32_e32 v12, 2, v16
	v_mov_b32_e32 v13, v17
	s_mov_b32 s0, exec_lo
	s_delay_alu instid0(VALU_DEP_1)
	v_cmpx_gt_i64_e64 s[18:19], v[12:13]
	s_cbranch_execz .LBB26_94
; %bb.89:
	s_and_not1_b32 vcc_lo, exec_lo, s1
	s_cbranch_vccnz .LBB26_91
; %bb.90:
	v_add_co_u32 v14, vcc_lo, v10, 4
	v_add_co_ci_u32_e32 v15, vcc_lo, 0, v11, vcc_lo
	s_cbranch_execz .LBB26_92
	s_branch .LBB26_93
.LBB26_91:
                                        ; implicit-def: $vgpr14_vgpr15
.LBB26_92:
	v_mul_lo_u32 v15, v13, s22
	v_mul_lo_u32 v22, v12, s23
	v_mad_u64_u32 v[13:14], null, v12, s22, 0
	s_delay_alu instid0(VALU_DEP_1) | instskip(NEXT) | instid1(VALU_DEP_1)
	v_add3_u32 v14, v14, v22, v15
	v_lshlrev_b64 v[12:13], 1, v[13:14]
	s_delay_alu instid0(VALU_DEP_1) | instskip(NEXT) | instid1(VALU_DEP_2)
	v_add_co_u32 v12, vcc_lo, v18, v12
	v_add_co_ci_u32_e32 v13, vcc_lo, v21, v13, vcc_lo
	s_delay_alu instid0(VALU_DEP_2) | instskip(NEXT) | instid1(VALU_DEP_2)
	v_add_co_u32 v14, vcc_lo, 0x100, v12
	v_add_co_ci_u32_e32 v15, vcc_lo, 0, v13, vcc_lo
.LBB26_93:
	global_load_u16 v12, v[14:15], off
	s_waitcnt vmcnt(0)
	v_cmp_neq_f16_e32 vcc_lo, 0, v12
	v_cndmask_b32_e64 v12, 0, 1, vcc_lo
	s_delay_alu instid0(VALU_DEP_1)
	v_add_co_u32 v4, vcc_lo, v4, v12
	v_add_co_ci_u32_e32 v5, vcc_lo, 0, v5, vcc_lo
.LBB26_94:
	s_or_b32 exec_lo, exec_lo, s0
	v_or_b32_e32 v12, 3, v16
	v_mov_b32_e32 v13, v17
	s_mov_b32 s0, exec_lo
	s_delay_alu instid0(VALU_DEP_1)
	v_cmpx_gt_i64_e64 s[18:19], v[12:13]
	s_cbranch_execz .LBB26_100
; %bb.95:
	s_and_not1_b32 vcc_lo, exec_lo, s1
	s_cbranch_vccnz .LBB26_97
; %bb.96:
	v_add_co_u32 v10, vcc_lo, v10, 6
	v_add_co_ci_u32_e32 v11, vcc_lo, 0, v11, vcc_lo
	s_cbranch_execz .LBB26_98
	s_branch .LBB26_99
.LBB26_97:
                                        ; implicit-def: $vgpr10_vgpr11
.LBB26_98:
	v_mul_lo_u32 v13, v13, s22
	v_mul_lo_u32 v14, v12, s23
	v_mad_u64_u32 v[10:11], null, v12, s22, 0
	s_delay_alu instid0(VALU_DEP_1) | instskip(NEXT) | instid1(VALU_DEP_1)
	v_add3_u32 v11, v11, v14, v13
	v_lshlrev_b64 v[10:11], 1, v[10:11]
	s_delay_alu instid0(VALU_DEP_1) | instskip(NEXT) | instid1(VALU_DEP_2)
	v_add_co_u32 v10, vcc_lo, v18, v10
	v_add_co_ci_u32_e32 v11, vcc_lo, v21, v11, vcc_lo
	s_delay_alu instid0(VALU_DEP_2) | instskip(NEXT) | instid1(VALU_DEP_2)
	v_add_co_u32 v10, vcc_lo, 0x100, v10
	v_add_co_ci_u32_e32 v11, vcc_lo, 0, v11, vcc_lo
.LBB26_99:
	global_load_u16 v10, v[10:11], off
	s_waitcnt vmcnt(0)
	v_cmp_neq_f16_e32 vcc_lo, 0, v10
	v_cndmask_b32_e64 v10, 0, 1, vcc_lo
	s_delay_alu instid0(VALU_DEP_1)
	v_add_co_u32 v4, vcc_lo, v4, v10
	v_add_co_ci_u32_e32 v5, vcc_lo, 0, v5, vcc_lo
.LBB26_100:
	s_or_b32 exec_lo, exec_lo, s0
.LBB26_101:
	s_delay_alu instid0(SALU_CYCLE_1) | instskip(SKIP_2) | instid1(VALU_DEP_1)
	s_or_b32 exec_lo, exec_lo, s3
	v_mov_b32_e32 v21, v19
	s_mov_b32 s3, exec_lo
	v_cmpx_gt_i64_e64 s[16:17], v[20:21]
	s_cbranch_execz .LBB26_125
; %bb.102:
	v_mad_u64_u32 v[10:11], null, v20, s22, 0
	s_delay_alu instid0(VALU_DEP_1) | instskip(NEXT) | instid1(VALU_DEP_1)
	v_mad_u64_u32 v[12:13], null, v20, s23, v[11:12]
	v_mov_b32_e32 v11, v12
	s_delay_alu instid0(VALU_DEP_1) | instskip(NEXT) | instid1(VALU_DEP_1)
	v_lshlrev_b64 v[10:11], 1, v[10:11]
	v_add_co_u32 v10, s0, v26, v10
	s_delay_alu instid0(VALU_DEP_1) | instskip(SKIP_1) | instid1(VALU_DEP_1)
	v_add_co_ci_u32_e64 v11, s0, v27, v11, s0
	v_add_co_u32 v14, s0, s20, v8
	v_add_co_ci_u32_e64 v15, s0, s21, v9, s0
	s_mov_b32 s0, exec_lo
	v_cmpx_gt_i64_e64 s[18:19], v[16:17]
	s_cbranch_execz .LBB26_106
; %bb.103:
	v_dual_mov_b32 v8, v10 :: v_dual_mov_b32 v9, v11
	s_and_not1_b32 vcc_lo, exec_lo, s2
	s_cbranch_vccnz .LBB26_105
; %bb.104:
	v_mul_lo_u32 v12, v17, s22
	v_mul_lo_u32 v13, v16, s23
	v_mad_u64_u32 v[8:9], null, v16, s22, 0
	s_delay_alu instid0(VALU_DEP_1) | instskip(NEXT) | instid1(VALU_DEP_1)
	v_add3_u32 v9, v9, v13, v12
	v_lshlrev_b64 v[8:9], 1, v[8:9]
	s_delay_alu instid0(VALU_DEP_1) | instskip(NEXT) | instid1(VALU_DEP_2)
	v_add_co_u32 v8, vcc_lo, v14, v8
	v_add_co_ci_u32_e32 v9, vcc_lo, v15, v9, vcc_lo
	s_delay_alu instid0(VALU_DEP_2) | instskip(NEXT) | instid1(VALU_DEP_2)
	v_add_co_u32 v8, vcc_lo, 0x180, v8
	v_add_co_ci_u32_e32 v9, vcc_lo, 0, v9, vcc_lo
.LBB26_105:
	global_load_u16 v8, v[8:9], off
	s_waitcnt vmcnt(0)
	v_cmp_neq_f16_e32 vcc_lo, 0, v8
	v_cndmask_b32_e64 v8, 0, 1, vcc_lo
	s_delay_alu instid0(VALU_DEP_1)
	v_add_co_u32 v6, vcc_lo, v6, v8
	v_add_co_ci_u32_e32 v7, vcc_lo, 0, v7, vcc_lo
.LBB26_106:
	s_or_b32 exec_lo, exec_lo, s0
	v_or_b32_e32 v8, 1, v16
	v_mov_b32_e32 v9, v17
	v_cndmask_b32_e64 v18, 0, 1, s1
	s_mov_b32 s0, exec_lo
	s_delay_alu instid0(VALU_DEP_2)
	v_cmpx_gt_i64_e64 s[18:19], v[8:9]
	s_cbranch_execz .LBB26_112
; %bb.107:
	s_and_not1_b32 vcc_lo, exec_lo, s1
	s_cbranch_vccnz .LBB26_109
; %bb.108:
	v_add_co_u32 v12, vcc_lo, v10, 2
	v_add_co_ci_u32_e32 v13, vcc_lo, 0, v11, vcc_lo
	s_cbranch_execz .LBB26_110
	s_branch .LBB26_111
.LBB26_109:
                                        ; implicit-def: $vgpr12_vgpr13
.LBB26_110:
	v_mul_lo_u32 v9, v9, s22
	v_mul_lo_u32 v19, v8, s23
	v_mad_u64_u32 v[12:13], null, v8, s22, 0
	s_delay_alu instid0(VALU_DEP_1) | instskip(NEXT) | instid1(VALU_DEP_1)
	v_add3_u32 v13, v13, v19, v9
	v_lshlrev_b64 v[8:9], 1, v[12:13]
	s_delay_alu instid0(VALU_DEP_1) | instskip(NEXT) | instid1(VALU_DEP_2)
	v_add_co_u32 v8, vcc_lo, v14, v8
	v_add_co_ci_u32_e32 v9, vcc_lo, v15, v9, vcc_lo
	s_delay_alu instid0(VALU_DEP_2) | instskip(NEXT) | instid1(VALU_DEP_2)
	v_add_co_u32 v12, vcc_lo, 0x180, v8
	v_add_co_ci_u32_e32 v13, vcc_lo, 0, v9, vcc_lo
.LBB26_111:
	global_load_u16 v8, v[12:13], off
	s_waitcnt vmcnt(0)
	v_cmp_neq_f16_e32 vcc_lo, 0, v8
	v_cndmask_b32_e64 v8, 0, 1, vcc_lo
	s_delay_alu instid0(VALU_DEP_1)
	v_add_co_u32 v6, vcc_lo, v6, v8
	v_add_co_ci_u32_e32 v7, vcc_lo, 0, v7, vcc_lo
.LBB26_112:
	s_or_b32 exec_lo, exec_lo, s0
	v_or_b32_e32 v8, 2, v16
	v_mov_b32_e32 v9, v17
	s_mov_b32 s0, exec_lo
	s_delay_alu instid0(VALU_DEP_1)
	v_cmpx_gt_i64_e64 s[18:19], v[8:9]
	s_cbranch_execz .LBB26_118
; %bb.113:
	v_cmp_ne_u32_e32 vcc_lo, 1, v18
	s_cbranch_vccnz .LBB26_115
; %bb.114:
	v_add_co_u32 v12, vcc_lo, v10, 4
	v_add_co_ci_u32_e32 v13, vcc_lo, 0, v11, vcc_lo
	s_cbranch_execz .LBB26_116
	s_branch .LBB26_117
.LBB26_115:
                                        ; implicit-def: $vgpr12_vgpr13
.LBB26_116:
	v_mul_lo_u32 v9, v9, s22
	v_mul_lo_u32 v19, v8, s23
	v_mad_u64_u32 v[12:13], null, v8, s22, 0
	s_delay_alu instid0(VALU_DEP_1) | instskip(NEXT) | instid1(VALU_DEP_1)
	v_add3_u32 v13, v13, v19, v9
	v_lshlrev_b64 v[8:9], 1, v[12:13]
	s_delay_alu instid0(VALU_DEP_1) | instskip(NEXT) | instid1(VALU_DEP_2)
	v_add_co_u32 v8, vcc_lo, v14, v8
	v_add_co_ci_u32_e32 v9, vcc_lo, v15, v9, vcc_lo
	s_delay_alu instid0(VALU_DEP_2) | instskip(NEXT) | instid1(VALU_DEP_2)
	v_add_co_u32 v12, vcc_lo, 0x180, v8
	v_add_co_ci_u32_e32 v13, vcc_lo, 0, v9, vcc_lo
.LBB26_117:
	global_load_u16 v8, v[12:13], off
	s_waitcnt vmcnt(0)
	v_cmp_neq_f16_e32 vcc_lo, 0, v8
	v_cndmask_b32_e64 v8, 0, 1, vcc_lo
	s_delay_alu instid0(VALU_DEP_1)
	v_add_co_u32 v6, vcc_lo, v6, v8
	v_add_co_ci_u32_e32 v7, vcc_lo, 0, v7, vcc_lo
.LBB26_118:
	s_or_b32 exec_lo, exec_lo, s0
	v_or_b32_e32 v16, 3, v16
	s_mov_b32 s0, exec_lo
	s_delay_alu instid0(VALU_DEP_1)
	v_cmpx_gt_i64_e64 s[18:19], v[16:17]
	s_cbranch_execz .LBB26_124
; %bb.119:
	v_cmp_ne_u32_e32 vcc_lo, 1, v18
	s_cbranch_vccnz .LBB26_121
; %bb.120:
	v_add_co_u32 v8, vcc_lo, v10, 6
	v_add_co_ci_u32_e32 v9, vcc_lo, 0, v11, vcc_lo
	s_cbranch_execz .LBB26_122
	s_branch .LBB26_123
.LBB26_121:
                                        ; implicit-def: $vgpr8_vgpr9
.LBB26_122:
	v_mul_lo_u32 v10, v17, s22
	v_mul_lo_u32 v11, v16, s23
	v_mad_u64_u32 v[8:9], null, v16, s22, 0
	s_delay_alu instid0(VALU_DEP_1) | instskip(NEXT) | instid1(VALU_DEP_1)
	v_add3_u32 v9, v9, v11, v10
	v_lshlrev_b64 v[8:9], 1, v[8:9]
	s_delay_alu instid0(VALU_DEP_1) | instskip(NEXT) | instid1(VALU_DEP_2)
	v_add_co_u32 v8, vcc_lo, v14, v8
	v_add_co_ci_u32_e32 v9, vcc_lo, v15, v9, vcc_lo
	s_delay_alu instid0(VALU_DEP_2) | instskip(NEXT) | instid1(VALU_DEP_2)
	v_add_co_u32 v8, vcc_lo, 0x180, v8
	v_add_co_ci_u32_e32 v9, vcc_lo, 0, v9, vcc_lo
.LBB26_123:
	global_load_u16 v8, v[8:9], off
	s_waitcnt vmcnt(0)
	v_cmp_neq_f16_e32 vcc_lo, 0, v8
	v_cndmask_b32_e64 v8, 0, 1, vcc_lo
	s_delay_alu instid0(VALU_DEP_1)
	v_add_co_u32 v6, vcc_lo, v6, v8
	v_add_co_ci_u32_e32 v7, vcc_lo, 0, v7, vcc_lo
.LBB26_124:
	s_or_b32 exec_lo, exec_lo, s0
.LBB26_125:
	s_delay_alu instid0(SALU_CYCLE_1)
	s_or_b32 exec_lo, exec_lo, s3
.LBB26_126:
	v_lshlrev_b32_e32 v8, 2, v30
	s_mov_b32 s0, exec_lo
	s_delay_alu instid0(VALU_DEP_1) | instskip(NEXT) | instid1(VALU_DEP_1)
	v_and_or_b32 v8, 0x1fffff00, v8, v31
	v_lshlrev_b32_e32 v8, 3, v8
	ds_store_2addr_stride64_b64 v8, v[0:1], v[2:3] offset1:1
	ds_store_2addr_stride64_b64 v8, v[4:5], v[6:7] offset0:2 offset1:3
	s_waitcnt lgkmcnt(0)
	s_barrier
	buffer_gl0_inv
	v_cmpx_gt_u32_e32 0x100, v30
	s_cbranch_execz .LBB26_129
; %bb.127:
	v_lshlrev_b32_e32 v12, 3, v30
	ds_load_2addr_stride64_b64 v[0:3], v12 offset1:4
	ds_load_2addr_stride64_b64 v[4:7], v12 offset0:8 offset1:12
	ds_load_2addr_stride64_b64 v[8:11], v12 offset0:16 offset1:20
	s_waitcnt lgkmcnt(2)
	v_add_co_u32 v13, vcc_lo, v0, v2
	v_add_co_ci_u32_e32 v14, vcc_lo, v1, v3, vcc_lo
	ds_load_2addr_stride64_b64 v[0:3], v12 offset0:24 offset1:28
	s_waitcnt lgkmcnt(2)
	v_add_co_u32 v4, vcc_lo, v13, v4
	v_add_co_ci_u32_e32 v5, vcc_lo, v14, v5, vcc_lo
	s_delay_alu instid0(VALU_DEP_2) | instskip(NEXT) | instid1(VALU_DEP_2)
	v_add_co_u32 v13, vcc_lo, v4, v6
	v_add_co_ci_u32_e32 v14, vcc_lo, v5, v7, vcc_lo
	ds_load_2addr_stride64_b64 v[4:7], v12 offset0:32 offset1:36
	s_waitcnt lgkmcnt(2)
	v_add_co_u32 v8, vcc_lo, v13, v8
	v_add_co_ci_u32_e32 v9, vcc_lo, v14, v9, vcc_lo
	s_delay_alu instid0(VALU_DEP_2) | instskip(NEXT) | instid1(VALU_DEP_2)
	;; [unrolled: 7-line block ×5, first 2 shown]
	v_add_co_u32 v8, vcc_lo, v8, v10
	v_add_co_ci_u32_e32 v9, vcc_lo, v9, v11, vcc_lo
	s_waitcnt lgkmcnt(1)
	s_delay_alu instid0(VALU_DEP_2) | instskip(NEXT) | instid1(VALU_DEP_2)
	v_add_co_u32 v0, vcc_lo, v8, v0
	v_add_co_ci_u32_e32 v1, vcc_lo, v9, v1, vcc_lo
	s_delay_alu instid0(VALU_DEP_2) | instskip(NEXT) | instid1(VALU_DEP_2)
	v_add_co_u32 v0, vcc_lo, v0, v2
	v_add_co_ci_u32_e32 v1, vcc_lo, v1, v3, vcc_lo
	v_add_co_u32 v2, s0, v30, s5
	s_waitcnt lgkmcnt(0)
	s_delay_alu instid0(VALU_DEP_3) | instskip(NEXT) | instid1(VALU_DEP_3)
	v_add_co_u32 v0, vcc_lo, v0, v4
	v_add_co_ci_u32_e32 v1, vcc_lo, v1, v5, vcc_lo
	v_add_co_ci_u32_e64 v3, null, 0, 0, s0
	s_delay_alu instid0(VALU_DEP_3) | instskip(NEXT) | instid1(VALU_DEP_3)
	v_add_co_u32 v0, vcc_lo, v0, v6
	v_add_co_ci_u32_e32 v1, vcc_lo, v1, v7, vcc_lo
	s_delay_alu instid0(VALU_DEP_3)
	v_cmp_gt_i64_e32 vcc_lo, s[16:17], v[2:3]
	ds_store_b64 v12, v[0:1]
	s_and_b32 exec_lo, exec_lo, vcc_lo
	s_cbranch_execz .LBB26_129
; %bb.128:
	v_lshlrev_b64 v[2:3], 3, v[2:3]
	s_delay_alu instid0(VALU_DEP_1) | instskip(NEXT) | instid1(VALU_DEP_2)
	v_add_co_u32 v2, vcc_lo, s6, v2
	v_add_co_ci_u32_e32 v3, vcc_lo, s7, v3, vcc_lo
	global_store_b64 v[2:3], v[0:1], off
.LBB26_129:
	s_nop 0
	s_sendmsg sendmsg(MSG_DEALLOC_VGPRS)
	s_endpgm
	.section	.rodata,"a",@progbits
	.p2align	6, 0x0
	.amdhsa_kernel _ZN9rocsparseL14nnz_kernel_rowILi64ELi16EllDF16_EEv16rocsparse_order_T2_S2_PKT3_lPT1_
		.amdhsa_group_segment_fixed_size 32768
		.amdhsa_private_segment_fixed_size 0
		.amdhsa_kernarg_size 304
		.amdhsa_user_sgpr_count 15
		.amdhsa_user_sgpr_dispatch_ptr 0
		.amdhsa_user_sgpr_queue_ptr 0
		.amdhsa_user_sgpr_kernarg_segment_ptr 1
		.amdhsa_user_sgpr_dispatch_id 0
		.amdhsa_user_sgpr_private_segment_size 0
		.amdhsa_wavefront_size32 1
		.amdhsa_uses_dynamic_stack 0
		.amdhsa_enable_private_segment 0
		.amdhsa_system_sgpr_workgroup_id_x 1
		.amdhsa_system_sgpr_workgroup_id_y 0
		.amdhsa_system_sgpr_workgroup_id_z 0
		.amdhsa_system_sgpr_workgroup_info 0
		.amdhsa_system_vgpr_workitem_id 1
		.amdhsa_next_free_vgpr 43
		.amdhsa_next_free_sgpr 30
		.amdhsa_reserve_vcc 1
		.amdhsa_float_round_mode_32 0
		.amdhsa_float_round_mode_16_64 0
		.amdhsa_float_denorm_mode_32 3
		.amdhsa_float_denorm_mode_16_64 3
		.amdhsa_dx10_clamp 1
		.amdhsa_ieee_mode 1
		.amdhsa_fp16_overflow 0
		.amdhsa_workgroup_processor_mode 1
		.amdhsa_memory_ordered 1
		.amdhsa_forward_progress 0
		.amdhsa_shared_vgpr_count 0
		.amdhsa_exception_fp_ieee_invalid_op 0
		.amdhsa_exception_fp_denorm_src 0
		.amdhsa_exception_fp_ieee_div_zero 0
		.amdhsa_exception_fp_ieee_overflow 0
		.amdhsa_exception_fp_ieee_underflow 0
		.amdhsa_exception_fp_ieee_inexact 0
		.amdhsa_exception_int_div_zero 0
	.end_amdhsa_kernel
	.section	.text._ZN9rocsparseL14nnz_kernel_rowILi64ELi16EllDF16_EEv16rocsparse_order_T2_S2_PKT3_lPT1_,"axG",@progbits,_ZN9rocsparseL14nnz_kernel_rowILi64ELi16EllDF16_EEv16rocsparse_order_T2_S2_PKT3_lPT1_,comdat
.Lfunc_end26:
	.size	_ZN9rocsparseL14nnz_kernel_rowILi64ELi16EllDF16_EEv16rocsparse_order_T2_S2_PKT3_lPT1_, .Lfunc_end26-_ZN9rocsparseL14nnz_kernel_rowILi64ELi16EllDF16_EEv16rocsparse_order_T2_S2_PKT3_lPT1_
                                        ; -- End function
	.section	.AMDGPU.csdata,"",@progbits
; Kernel info:
; codeLenInByte = 6588
; NumSgprs: 32
; NumVgprs: 43
; ScratchSize: 0
; MemoryBound: 0
; FloatMode: 240
; IeeeMode: 1
; LDSByteSize: 32768 bytes/workgroup (compile time only)
; SGPRBlocks: 3
; VGPRBlocks: 5
; NumSGPRsForWavesPerEU: 32
; NumVGPRsForWavesPerEU: 43
; Occupancy: 16
; WaveLimiterHint : 0
; COMPUTE_PGM_RSRC2:SCRATCH_EN: 0
; COMPUTE_PGM_RSRC2:USER_SGPR: 15
; COMPUTE_PGM_RSRC2:TRAP_HANDLER: 0
; COMPUTE_PGM_RSRC2:TGID_X_EN: 1
; COMPUTE_PGM_RSRC2:TGID_Y_EN: 0
; COMPUTE_PGM_RSRC2:TGID_Z_EN: 0
; COMPUTE_PGM_RSRC2:TIDIG_COMP_CNT: 1
	.section	.text._ZN9rocsparseL14nnz_kernel_colILi256EllDF16_EEv16rocsparse_order_T1_S2_PKT2_lPT0_,"axG",@progbits,_ZN9rocsparseL14nnz_kernel_colILi256EllDF16_EEv16rocsparse_order_T1_S2_PKT2_lPT0_,comdat
	.globl	_ZN9rocsparseL14nnz_kernel_colILi256EllDF16_EEv16rocsparse_order_T1_S2_PKT2_lPT0_ ; -- Begin function _ZN9rocsparseL14nnz_kernel_colILi256EllDF16_EEv16rocsparse_order_T1_S2_PKT2_lPT0_
	.p2align	8
	.type	_ZN9rocsparseL14nnz_kernel_colILi256EllDF16_EEv16rocsparse_order_T1_S2_PKT2_lPT0_,@function
_ZN9rocsparseL14nnz_kernel_colILi256EllDF16_EEv16rocsparse_order_T1_S2_PKT2_lPT0_: ; @_ZN9rocsparseL14nnz_kernel_colILi256EllDF16_EEv16rocsparse_order_T1_S2_PKT2_lPT0_
; %bb.0:
	s_clause 0x2
	s_load_b64 s[10:11], s[0:1], 0x8
	s_load_b32 s3, s[0:1], 0x0
	s_load_b128 s[4:7], s[0:1], 0x18
	v_mov_b32_e32 v1, 0
	s_mov_b32 s8, s15
	s_waitcnt lgkmcnt(0)
	s_ashr_i32 s2, s11, 31
	s_delay_alu instid0(SALU_CYCLE_1) | instskip(NEXT) | instid1(SALU_CYCLE_1)
	s_lshr_b32 s2, s2, 24
	s_add_u32 s9, s10, s2
	v_cmp_gt_i64_e64 s2, 0x100, s[10:11]
	s_addc_u32 s13, s11, 0
	s_and_b32 s12, s9, 0xffffff00
	s_cmp_eq_u32 s3, 1
	s_mov_b32 s9, 0
	s_cbranch_scc1 .LBB27_6
; %bb.1:
	v_mov_b32_e32 v2, 0
	v_mov_b32_e32 v3, 0
	s_and_b32 vcc_lo, exec_lo, s2
	s_cbranch_vccnz .LBB27_7
; %bb.2:
	v_mad_u64_u32 v[2:3], null, s6, v0, 0
	s_lshl_b64 s[2:3], s[8:9], 1
	s_mov_b64 s[14:15], 0
	s_add_u32 s2, s4, s2
	s_addc_u32 s3, s5, s3
	s_delay_alu instid0(VALU_DEP_1) | instskip(NEXT) | instid1(VALU_DEP_1)
	v_mad_u64_u32 v[4:5], null, s7, v0, v[3:4]
	v_mov_b32_e32 v3, v4
	s_delay_alu instid0(VALU_DEP_1) | instskip(SKIP_2) | instid1(VALU_DEP_3)
	v_lshlrev_b64 v[4:5], 1, v[2:3]
	v_mov_b32_e32 v2, 0
	v_mov_b32_e32 v3, 0
	v_add_co_u32 v4, vcc_lo, s2, v4
	s_delay_alu instid0(VALU_DEP_4)
	v_add_co_ci_u32_e32 v5, vcc_lo, s3, v5, vcc_lo
	s_lshl_b64 s[2:3], s[6:7], 9
	s_set_inst_prefetch_distance 0x1
	s_branch .LBB27_4
	.p2align	6
.LBB27_3:                               ;   in Loop: Header=BB27_4 Depth=1
	s_or_b32 exec_lo, exec_lo, s16
	s_add_u32 s14, s14, 0x100
	s_addc_u32 s15, s15, 0
	v_add_co_u32 v4, vcc_lo, v4, s2
	v_cmp_ge_i64_e64 s16, s[14:15], s[12:13]
	v_add_co_ci_u32_e32 v5, vcc_lo, s3, v5, vcc_lo
	s_delay_alu instid0(VALU_DEP_2)
	s_and_b32 vcc_lo, exec_lo, s16
	s_cbranch_vccnz .LBB27_7
.LBB27_4:                               ; =>This Inner Loop Header: Depth=1
	v_add_co_u32 v6, s16, v0, s14
	s_delay_alu instid0(VALU_DEP_1) | instskip(SKIP_1) | instid1(VALU_DEP_1)
	v_add_co_ci_u32_e64 v7, null, 0, s15, s16
	s_mov_b32 s16, exec_lo
	v_cmpx_gt_i64_e64 s[10:11], v[6:7]
	s_cbranch_execz .LBB27_3
; %bb.5:                                ;   in Loop: Header=BB27_4 Depth=1
	global_load_u16 v6, v[4:5], off
	s_waitcnt vmcnt(0)
	v_cmp_neq_f16_e32 vcc_lo, 0, v6
	v_cndmask_b32_e64 v6, 0, 1, vcc_lo
	s_delay_alu instid0(VALU_DEP_1)
	v_add_co_u32 v2, vcc_lo, v2, v6
	v_add_co_ci_u32_e32 v3, vcc_lo, 0, v3, vcc_lo
	s_branch .LBB27_3
.LBB27_6:
	s_mov_b32 s3, s9
                                        ; implicit-def: $vgpr2_vgpr3
                                        ; implicit-def: $vgpr4_vgpr5
	s_cbranch_execnz .LBB27_10
	s_branch .LBB27_16
.LBB27_7:
	s_set_inst_prefetch_distance 0x2
	v_add_co_u32 v6, s2, s12, v0
	s_delay_alu instid0(VALU_DEP_1) | instskip(SKIP_3) | instid1(VALU_DEP_1)
	v_add_co_ci_u32_e64 v7, null, s13, 0, s2
	s_mov_b32 s2, 0
	s_mov_b32 s3, 0
	s_mov_b32 s14, exec_lo
                                        ; implicit-def: $vgpr4_vgpr5
	v_cmpx_gt_i64_e64 s[10:11], v[6:7]
	s_xor_b32 s14, exec_lo, s14
; %bb.8:
	v_mul_lo_u32 v7, v7, s6
	v_mul_lo_u32 v8, v6, s7
	v_mad_u64_u32 v[4:5], null, v6, s6, 0
	s_lshl_b64 s[16:17], s[8:9], 1
	s_mov_b32 s3, exec_lo
	s_add_u32 s15, s16, s4
	s_addc_u32 s16, s17, s5
	s_delay_alu instid0(VALU_DEP_1) | instskip(NEXT) | instid1(VALU_DEP_1)
	v_add3_u32 v5, v5, v8, v7
	v_lshlrev_b64 v[4:5], 1, v[4:5]
	s_delay_alu instid0(VALU_DEP_1) | instskip(NEXT) | instid1(VALU_DEP_2)
	v_add_co_u32 v4, vcc_lo, s15, v4
	v_add_co_ci_u32_e32 v5, vcc_lo, s16, v5, vcc_lo
; %bb.9:
	s_or_b32 exec_lo, exec_lo, s14
	s_delay_alu instid0(SALU_CYCLE_1)
	s_and_b32 vcc_lo, exec_lo, s2
	s_cbranch_vccz .LBB27_16
.LBB27_10:
	v_cmp_gt_i64_e32 vcc_lo, s[10:11], v[0:1]
	s_mul_i32 s2, s8, s7
	s_mul_hi_u32 s7, s8, s6
	s_mul_i32 s6, s8, s6
	s_add_i32 s7, s7, s2
	v_dual_mov_b32 v2, 0 :: v_dual_cndmask_b32 v1, 0, v0
	s_lshl_b64 s[6:7], s[6:7], 1
	v_mov_b32_e32 v3, 0
	s_add_u32 s2, s4, s6
	s_addc_u32 s4, s5, s7
	v_lshlrev_b32_e32 v1, 1, v1
	v_cmp_gt_i64_e64 s5, 0x100, s[10:11]
	s_delay_alu instid0(VALU_DEP_2) | instskip(NEXT) | instid1(VALU_DEP_1)
	v_add_co_u32 v6, s2, s2, v1
	v_add_co_ci_u32_e64 v7, null, s4, 0, s2
	s_delay_alu instid0(VALU_DEP_3)
	s_and_b32 vcc_lo, exec_lo, s5
	s_cbranch_vccnz .LBB27_13
; %bb.11:
	v_mov_b32_e32 v2, 0
	v_dual_mov_b32 v3, 0 :: v_dual_mov_b32 v4, v6
	v_mov_b32_e32 v5, v7
	s_mov_b64 s[4:5], 0
	.p2align	6
.LBB27_12:                              ; =>This Inner Loop Header: Depth=1
	global_load_u16 v1, v[4:5], off
	v_add_co_u32 v4, vcc_lo, 0x200, v4
	v_add_co_ci_u32_e32 v5, vcc_lo, 0, v5, vcc_lo
	s_add_u32 s4, s4, 0x100
	s_addc_u32 s5, s5, 0
	s_delay_alu instid0(SALU_CYCLE_1) | instskip(SKIP_3) | instid1(VALU_DEP_3)
	v_cmp_ge_i64_e64 s2, s[4:5], s[12:13]
	s_waitcnt vmcnt(0)
	v_cmp_neq_f16_e32 vcc_lo, 0, v1
	v_cndmask_b32_e64 v1, 0, 1, vcc_lo
	s_and_b32 vcc_lo, exec_lo, s2
	s_delay_alu instid0(VALU_DEP_1) | instskip(NEXT) | instid1(VALU_DEP_1)
	v_add_co_u32 v2, s2, v2, v1
	v_add_co_ci_u32_e64 v3, s2, 0, v3, s2
	s_cbranch_vccz .LBB27_12
.LBB27_13:
	v_add_co_u32 v4, s2, s12, v0
	s_delay_alu instid0(VALU_DEP_1) | instskip(NEXT) | instid1(VALU_DEP_1)
	v_add_co_ci_u32_e64 v5, null, s13, 0, s2
	v_cmp_gt_i64_e32 vcc_lo, s[10:11], v[4:5]
                                        ; implicit-def: $vgpr4_vgpr5
	s_and_saveexec_b32 s2, vcc_lo
; %bb.14:
	s_lshl_b64 s[4:5], s[12:13], 1
	s_or_b32 s3, s3, exec_lo
	v_add_co_u32 v4, vcc_lo, v6, s4
	v_add_co_ci_u32_e32 v5, vcc_lo, s5, v7, vcc_lo
; %bb.15:
	s_or_b32 exec_lo, exec_lo, s2
.LBB27_16:
	s_and_saveexec_b32 s2, s3
	s_cbranch_execz .LBB27_18
; %bb.17:
	global_load_u16 v1, v[4:5], off
	s_waitcnt vmcnt(0)
	v_cmp_neq_f16_e32 vcc_lo, 0, v1
	v_cndmask_b32_e64 v1, 0, 1, vcc_lo
	s_delay_alu instid0(VALU_DEP_1)
	v_add_co_u32 v2, vcc_lo, v2, v1
	v_add_co_ci_u32_e32 v3, vcc_lo, 0, v3, vcc_lo
.LBB27_18:
	s_or_b32 exec_lo, exec_lo, s2
	v_cmp_gt_i64_e64 s2, 0x100, s[10:11]
	v_lshlrev_b32_e32 v4, 3, v0
	s_mov_b32 s3, -1
	ds_store_b64 v4, v[2:3]
	s_and_b32 vcc_lo, exec_lo, s2
	v_cmp_eq_u32_e64 s2, 0, v0
	s_waitcnt lgkmcnt(0)
	s_cbranch_vccz .LBB27_28
; %bb.19:
	v_cmp_gt_i64_e64 s3, s[10:11], 1
	s_mov_b64 s[4:5], 1
	s_barrier
	buffer_gl0_inv
	s_and_b32 s2, s2, s3
	s_delay_alu instid0(SALU_CYCLE_1)
	s_and_saveexec_b32 s5, s2
	s_cbranch_execz .LBB27_27
; %bb.20:
	v_mov_b32_e32 v1, 0
	s_add_u32 s12, s10, -1
	s_addc_u32 s3, s11, -1
	s_add_u32 s6, s10, -2
	s_addc_u32 s7, s11, -1
	ds_load_b64 v[1:2], v1
	v_cmp_lt_u64_e64 s2, s[6:7], 7
	s_delay_alu instid0(VALU_DEP_1)
	s_and_b32 vcc_lo, exec_lo, s2
	s_cbranch_vccnz .LBB27_23
; %bb.21:
	s_and_b32 s2, s12, -8
	s_mov_b64 s[6:7], 0
	s_mov_b32 s10, 8
	s_set_inst_prefetch_distance 0x1
	.p2align	6
.LBB27_22:                              ; =>This Inner Loop Header: Depth=1
	v_mov_b32_e32 v3, s10
	s_add_u32 s14, s6, 8
	s_addc_u32 s15, s7, 0
	s_add_i32 s10, s10, 64
	s_add_u32 s4, s6, 9
	ds_load_2addr_b64 v[5:8], v3 offset1:1
	ds_load_2addr_b64 v[9:12], v3 offset0:2 offset1:3
	ds_load_2addr_b64 v[13:16], v3 offset0:4 offset1:5
	s_cmp_lg_u64 s[2:3], s[14:15]
	s_mov_b64 s[6:7], s[14:15]
	s_waitcnt lgkmcnt(2)
	v_add_co_u32 v1, vcc_lo, v1, v5
	v_add_co_ci_u32_e32 v2, vcc_lo, v2, v6, vcc_lo
	s_delay_alu instid0(VALU_DEP_2) | instskip(NEXT) | instid1(VALU_DEP_2)
	v_add_co_u32 v1, vcc_lo, v1, v7
	v_add_co_ci_u32_e32 v2, vcc_lo, v2, v8, vcc_lo
	ds_load_2addr_b64 v[5:8], v3 offset0:6 offset1:7
	s_waitcnt lgkmcnt(2)
	v_add_co_u32 v1, vcc_lo, v1, v9
	v_add_co_ci_u32_e32 v2, vcc_lo, v2, v10, vcc_lo
	s_delay_alu instid0(VALU_DEP_2) | instskip(NEXT) | instid1(VALU_DEP_2)
	v_add_co_u32 v1, vcc_lo, v1, v11
	v_add_co_ci_u32_e32 v2, vcc_lo, v2, v12, vcc_lo
	s_waitcnt lgkmcnt(1)
	s_delay_alu instid0(VALU_DEP_2) | instskip(NEXT) | instid1(VALU_DEP_2)
	v_add_co_u32 v1, vcc_lo, v1, v13
	v_add_co_ci_u32_e32 v2, vcc_lo, v2, v14, vcc_lo
	s_delay_alu instid0(VALU_DEP_2) | instskip(NEXT) | instid1(VALU_DEP_2)
	v_add_co_u32 v1, vcc_lo, v1, v15
	v_add_co_ci_u32_e32 v2, vcc_lo, v2, v16, vcc_lo
	s_waitcnt lgkmcnt(0)
	s_delay_alu instid0(VALU_DEP_2) | instskip(NEXT) | instid1(VALU_DEP_2)
	v_add_co_u32 v1, vcc_lo, v1, v5
	v_add_co_ci_u32_e32 v2, vcc_lo, v2, v6, vcc_lo
	s_delay_alu instid0(VALU_DEP_2) | instskip(NEXT) | instid1(VALU_DEP_2)
	v_add_co_u32 v1, vcc_lo, v1, v7
	v_add_co_ci_u32_e32 v2, vcc_lo, v2, v8, vcc_lo
	s_cbranch_scc1 .LBB27_22
.LBB27_23:
	s_set_inst_prefetch_distance 0x2
	s_and_b32 s2, s12, 7
	s_mov_b32 s3, 0
	s_delay_alu instid0(SALU_CYCLE_1)
	s_cmp_eq_u64 s[2:3], 0
	s_cbranch_scc1 .LBB27_26
; %bb.24:
	s_lshl_b32 s4, s4, 3
.LBB27_25:                              ; =>This Inner Loop Header: Depth=1
	s_delay_alu instid0(SALU_CYCLE_1) | instskip(SKIP_3) | instid1(SALU_CYCLE_1)
	v_mov_b32_e32 v3, s4
	s_add_i32 s4, s4, 8
	s_add_u32 s2, s2, -1
	s_addc_u32 s3, s3, -1
	s_cmp_lg_u64 s[2:3], 0
	ds_load_b64 v[5:6], v3
	s_waitcnt lgkmcnt(0)
	v_add_co_u32 v1, vcc_lo, v1, v5
	v_add_co_ci_u32_e32 v2, vcc_lo, v2, v6, vcc_lo
	s_cbranch_scc1 .LBB27_25
.LBB27_26:
	v_mov_b32_e32 v3, 0
	s_waitcnt lgkmcnt(0)
	ds_store_b64 v3, v[1:2]
.LBB27_27:
	s_or_b32 exec_lo, exec_lo, s5
	s_mov_b32 s3, 0
	s_waitcnt lgkmcnt(0)
	s_barrier
.LBB27_28:
	s_and_b32 vcc_lo, exec_lo, s3
	s_cbranch_vccz .LBB27_46
; %bb.29:
	s_mov_b32 s2, exec_lo
	s_barrier
	buffer_gl0_inv
	v_cmpx_gt_u32_e32 0x80, v0
	s_cbranch_execz .LBB27_31
; %bb.30:
	ds_load_2addr_stride64_b64 v[5:8], v4 offset1:2
	s_waitcnt lgkmcnt(0)
	v_add_co_u32 v1, vcc_lo, v5, v7
	v_add_co_ci_u32_e32 v2, vcc_lo, v6, v8, vcc_lo
	ds_store_b64 v4, v[1:2]
.LBB27_31:
	s_or_b32 exec_lo, exec_lo, s2
	s_delay_alu instid0(SALU_CYCLE_1)
	s_mov_b32 s2, exec_lo
	s_waitcnt lgkmcnt(0)
	s_barrier
	buffer_gl0_inv
	v_cmpx_gt_u32_e32 64, v0
	s_cbranch_execz .LBB27_33
; %bb.32:
	ds_load_2addr_stride64_b64 v[5:8], v4 offset1:1
	s_waitcnt lgkmcnt(0)
	v_add_co_u32 v1, vcc_lo, v5, v7
	v_add_co_ci_u32_e32 v2, vcc_lo, v6, v8, vcc_lo
	ds_store_b64 v4, v[1:2]
.LBB27_33:
	s_or_b32 exec_lo, exec_lo, s2
	s_delay_alu instid0(SALU_CYCLE_1)
	s_mov_b32 s2, exec_lo
	s_waitcnt lgkmcnt(0)
	s_barrier
	buffer_gl0_inv
	v_cmpx_gt_u32_e32 32, v0
	s_cbranch_execz .LBB27_35
; %bb.34:
	ds_load_2addr_b64 v[5:8], v4 offset1:32
	s_waitcnt lgkmcnt(0)
	v_add_co_u32 v1, vcc_lo, v5, v7
	v_add_co_ci_u32_e32 v2, vcc_lo, v6, v8, vcc_lo
	ds_store_b64 v4, v[1:2]
.LBB27_35:
	s_or_b32 exec_lo, exec_lo, s2
	s_delay_alu instid0(SALU_CYCLE_1)
	s_mov_b32 s2, exec_lo
	s_waitcnt lgkmcnt(0)
	s_barrier
	buffer_gl0_inv
	v_cmpx_gt_u32_e32 16, v0
	s_cbranch_execz .LBB27_37
; %bb.36:
	ds_load_2addr_b64 v[5:8], v4 offset1:16
	s_waitcnt lgkmcnt(0)
	v_add_co_u32 v1, vcc_lo, v5, v7
	v_add_co_ci_u32_e32 v2, vcc_lo, v6, v8, vcc_lo
	ds_store_b64 v4, v[1:2]
.LBB27_37:
	;; [unrolled: 15-line block ×5, first 2 shown]
	s_or_b32 exec_lo, exec_lo, s2
	s_delay_alu instid0(SALU_CYCLE_1)
	s_mov_b32 s2, exec_lo
	s_waitcnt lgkmcnt(0)
	s_barrier
	buffer_gl0_inv
	v_cmpx_eq_u32_e32 0, v0
	s_cbranch_execz .LBB27_45
; %bb.44:
	v_mov_b32_e32 v5, 0
	ds_load_b128 v[1:4], v5
	s_waitcnt lgkmcnt(0)
	v_add_co_u32 v1, vcc_lo, v1, v3
	v_add_co_ci_u32_e32 v2, vcc_lo, v2, v4, vcc_lo
	ds_store_b64 v5, v[1:2]
.LBB27_45:
	s_or_b32 exec_lo, exec_lo, s2
	s_waitcnt lgkmcnt(0)
	s_barrier
.LBB27_46:
	buffer_gl0_inv
	s_mov_b32 s2, exec_lo
	v_cmpx_eq_u32_e32 0, v0
	s_cbranch_execz .LBB27_48
; %bb.47:
	v_mov_b32_e32 v2, 0
	s_load_b64 s[0:1], s[0:1], 0x28
	s_lshl_b64 s[2:3], s[8:9], 3
	ds_load_b64 v[0:1], v2
	s_waitcnt lgkmcnt(0)
	s_add_u32 s0, s0, s2
	s_addc_u32 s1, s1, s3
	global_store_b64 v2, v[0:1], s[0:1]
.LBB27_48:
	s_nop 0
	s_sendmsg sendmsg(MSG_DEALLOC_VGPRS)
	s_endpgm
	.section	.rodata,"a",@progbits
	.p2align	6, 0x0
	.amdhsa_kernel _ZN9rocsparseL14nnz_kernel_colILi256EllDF16_EEv16rocsparse_order_T1_S2_PKT2_lPT0_
		.amdhsa_group_segment_fixed_size 2048
		.amdhsa_private_segment_fixed_size 0
		.amdhsa_kernarg_size 48
		.amdhsa_user_sgpr_count 15
		.amdhsa_user_sgpr_dispatch_ptr 0
		.amdhsa_user_sgpr_queue_ptr 0
		.amdhsa_user_sgpr_kernarg_segment_ptr 1
		.amdhsa_user_sgpr_dispatch_id 0
		.amdhsa_user_sgpr_private_segment_size 0
		.amdhsa_wavefront_size32 1
		.amdhsa_uses_dynamic_stack 0
		.amdhsa_enable_private_segment 0
		.amdhsa_system_sgpr_workgroup_id_x 1
		.amdhsa_system_sgpr_workgroup_id_y 0
		.amdhsa_system_sgpr_workgroup_id_z 0
		.amdhsa_system_sgpr_workgroup_info 0
		.amdhsa_system_vgpr_workitem_id 0
		.amdhsa_next_free_vgpr 17
		.amdhsa_next_free_sgpr 18
		.amdhsa_reserve_vcc 1
		.amdhsa_float_round_mode_32 0
		.amdhsa_float_round_mode_16_64 0
		.amdhsa_float_denorm_mode_32 3
		.amdhsa_float_denorm_mode_16_64 3
		.amdhsa_dx10_clamp 1
		.amdhsa_ieee_mode 1
		.amdhsa_fp16_overflow 0
		.amdhsa_workgroup_processor_mode 1
		.amdhsa_memory_ordered 1
		.amdhsa_forward_progress 0
		.amdhsa_shared_vgpr_count 0
		.amdhsa_exception_fp_ieee_invalid_op 0
		.amdhsa_exception_fp_denorm_src 0
		.amdhsa_exception_fp_ieee_div_zero 0
		.amdhsa_exception_fp_ieee_overflow 0
		.amdhsa_exception_fp_ieee_underflow 0
		.amdhsa_exception_fp_ieee_inexact 0
		.amdhsa_exception_int_div_zero 0
	.end_amdhsa_kernel
	.section	.text._ZN9rocsparseL14nnz_kernel_colILi256EllDF16_EEv16rocsparse_order_T1_S2_PKT2_lPT0_,"axG",@progbits,_ZN9rocsparseL14nnz_kernel_colILi256EllDF16_EEv16rocsparse_order_T1_S2_PKT2_lPT0_,comdat
.Lfunc_end27:
	.size	_ZN9rocsparseL14nnz_kernel_colILi256EllDF16_EEv16rocsparse_order_T1_S2_PKT2_lPT0_, .Lfunc_end27-_ZN9rocsparseL14nnz_kernel_colILi256EllDF16_EEv16rocsparse_order_T1_S2_PKT2_lPT0_
                                        ; -- End function
	.section	.AMDGPU.csdata,"",@progbits
; Kernel info:
; codeLenInByte = 1884
; NumSgprs: 20
; NumVgprs: 17
; ScratchSize: 0
; MemoryBound: 0
; FloatMode: 240
; IeeeMode: 1
; LDSByteSize: 2048 bytes/workgroup (compile time only)
; SGPRBlocks: 2
; VGPRBlocks: 2
; NumSGPRsForWavesPerEU: 20
; NumVGPRsForWavesPerEU: 17
; Occupancy: 16
; WaveLimiterHint : 0
; COMPUTE_PGM_RSRC2:SCRATCH_EN: 0
; COMPUTE_PGM_RSRC2:USER_SGPR: 15
; COMPUTE_PGM_RSRC2:TRAP_HANDLER: 0
; COMPUTE_PGM_RSRC2:TGID_X_EN: 1
; COMPUTE_PGM_RSRC2:TGID_Y_EN: 0
; COMPUTE_PGM_RSRC2:TGID_Z_EN: 0
; COMPUTE_PGM_RSRC2:TIDIG_COMP_CNT: 0
	.section	.text._ZN9rocsparseL14nnz_kernel_rowILi64ELi16EllfEEv16rocsparse_order_T2_S2_PKT3_lPT1_,"axG",@progbits,_ZN9rocsparseL14nnz_kernel_rowILi64ELi16EllfEEv16rocsparse_order_T2_S2_PKT3_lPT1_,comdat
	.globl	_ZN9rocsparseL14nnz_kernel_rowILi64ELi16EllfEEv16rocsparse_order_T2_S2_PKT3_lPT1_ ; -- Begin function _ZN9rocsparseL14nnz_kernel_rowILi64ELi16EllfEEv16rocsparse_order_T2_S2_PKT3_lPT1_
	.p2align	8
	.type	_ZN9rocsparseL14nnz_kernel_rowILi64ELi16EllfEEv16rocsparse_order_T2_S2_PKT3_lPT1_,@function
_ZN9rocsparseL14nnz_kernel_rowILi64ELi16EllfEEv16rocsparse_order_T2_S2_PKT3_lPT1_: ; @_ZN9rocsparseL14nnz_kernel_rowILi64ELi16EllfEEv16rocsparse_order_T2_S2_PKT3_lPT1_
; %bb.0:
	s_clause 0x2
	s_load_b32 s2, s[0:1], 0x3c
	s_load_b256 s[16:23], s[0:1], 0x8
	s_load_b64 s[6:7], s[0:1], 0x28
	s_mov_b32 s8, 0
	s_lshl_b32 s5, s15, 8
	s_mov_b32 s9, s8
	s_mov_b32 s10, s8
	;; [unrolled: 1-line block ×7, first 2 shown]
	v_and_b32_e32 v1, 0x3ff, v0
	v_bfe_u32 v0, v0, 10, 10
	s_load_b32 s28, s[0:1], 0x0
	s_mov_b32 s29, exec_lo
	s_waitcnt lgkmcnt(0)
	s_and_b32 s0, s2, 0xffff
	s_delay_alu instid0(SALU_CYCLE_1) | instskip(SKIP_1) | instid1(SALU_CYCLE_1)
	v_mad_u32_u24 v30, v0, s0, v1
	s_ashr_i32 s0, s19, 31
	s_lshr_b32 s0, s0, 26
	s_delay_alu instid0(SALU_CYCLE_1) | instskip(NEXT) | instid1(VALU_DEP_1)
	s_add_u32 s0, s18, s0
	v_lshrrev_b32_e32 v0, 4, v30
	v_and_b32_e32 v31, 63, v30
	v_mov_b32_e32 v19, 0
	s_addc_u32 s27, s19, 0
	s_and_b32 s26, s0, 0xffffffc0
	v_and_b32_e32 v16, 0x7ffffc, v0
	v_mov_b32_e32 v0, s8
	v_or_b32_e32 v18, s5, v31
	v_dual_mov_b32 v17, v19 :: v_dual_mov_b32 v4, s12
	v_dual_mov_b32 v1, s9 :: v_dual_mov_b32 v6, s14
	;; [unrolled: 1-line block ×3, first 2 shown]
	v_mov_b32_e32 v5, s13
	v_mov_b32_e32 v7, s15
	v_or_b32_e32 v24, 64, v18
	v_or_b32_e32 v22, 0x80, v18
	;; [unrolled: 1-line block ×3, first 2 shown]
	s_sub_u32 s24, s18, s26
	s_subb_u32 s25, s19, s27
	v_cmpx_gt_i64_e64 s[26:27], v[16:17]
	s_cbranch_execz .LBB28_28
; %bb.1:
	v_add_co_u32 v0, s0, s5, v31
	s_delay_alu instid0(VALU_DEP_1) | instskip(SKIP_1) | instid1(VALU_DEP_3)
	v_add_co_ci_u32_e64 v1, null, 0, 0, s0
	v_lshrrev_b32_e32 v11, 6, v30
	v_mul_lo_u32 v4, s23, v0
	v_mad_u64_u32 v[2:3], null, s22, v0, 0
	s_delay_alu instid0(VALU_DEP_4) | instskip(SKIP_3) | instid1(VALU_DEP_3)
	v_mul_lo_u32 v5, s22, v1
	v_add_co_u32 v6, vcc_lo, v0, 64
	v_add_co_ci_u32_e32 v7, vcc_lo, 0, v1, vcc_lo
	v_mov_b32_e32 v21, v19
	v_mul_lo_u32 v8, s23, v6
	v_add_co_u32 v9, vcc_lo, 0x80, v0
	v_add3_u32 v3, v3, v5, v4
	v_mul_lo_u32 v7, s22, v7
	v_mad_u64_u32 v[4:5], null, s22, v6, 0
	v_lshlrev_b32_e32 v13, 4, v11
	s_delay_alu instid0(VALU_DEP_4)
	v_lshlrev_b64 v[2:3], 2, v[2:3]
	v_mov_b32_e32 v23, v19
	v_add_co_ci_u32_e32 v6, vcc_lo, 0, v1, vcc_lo
	v_cmp_gt_i64_e64 s3, s[16:17], v[20:21]
	v_add3_u32 v5, v5, v7, v8
	v_add_co_u32 v21, vcc_lo, v2, v13
	v_cmp_gt_i64_e64 s2, s[16:17], v[22:23]
	v_mul_lo_u32 v8, s23, v9
	v_mul_lo_u32 v10, s22, v6
	v_mad_u64_u32 v[6:7], null, s22, v9, 0
	v_add_co_ci_u32_e32 v23, vcc_lo, 0, v3, vcc_lo
	v_add_co_u32 v9, vcc_lo, 0xc0, v0
	v_lshlrev_b64 v[2:3], 2, v[4:5]
	v_add_co_ci_u32_e32 v4, vcc_lo, 0, v1, vcc_lo
	v_lshlrev_b64 v[0:1], 2, v[0:1]
	v_mov_b32_e32 v25, v19
	v_add3_u32 v7, v7, v10, v8
	v_mul_lo_u32 v10, s23, v9
	v_or_b32_e32 v12, 12, v13
	v_mul_lo_u32 v14, s22, v4
	v_mad_u64_u32 v[4:5], null, s22, v9, 0
	v_cmp_gt_i64_e64 s1, s[16:17], v[24:25]
	s_delay_alu instid0(VALU_DEP_4)
	v_mad_u64_u32 v[25:26], null, s22, v12, v[0:1]
	v_add_co_u32 v32, vcc_lo, v2, v13
	v_add_co_ci_u32_e32 v33, vcc_lo, 0, v3, vcc_lo
	v_add3_u32 v5, v5, v14, v10
	v_or_b32_e32 v14, 8, v13
	v_lshlrev_b64 v[2:3], 2, v[6:7]
	v_mov_b32_e32 v6, v26
	v_mad_u64_u32 v[8:9], null, s22, v11, 0
	s_delay_alu instid0(VALU_DEP_4) | instskip(NEXT) | instid1(VALU_DEP_4)
	v_mad_u64_u32 v[26:27], null, s22, v14, v[0:1]
	v_add_co_u32 v34, vcc_lo, v2, v13
	v_add_co_ci_u32_e32 v35, vcc_lo, 0, v3, vcc_lo
	v_lshlrev_b64 v[2:3], 2, v[4:5]
	s_delay_alu instid0(VALU_DEP_4) | instskip(SKIP_3) | instid1(VALU_DEP_3)
	v_dual_mov_b32 v7, v9 :: v_dual_mov_b32 v4, v27
	v_or_b32_e32 v15, 4, v13
	v_cmp_gt_i64_e64 s0, s[16:17], v[18:19]
	s_cmp_lg_u32 s28, 1
	v_mad_u64_u32 v[9:10], null, s23, v11, v[7:8]
	s_delay_alu instid0(VALU_DEP_3) | instskip(SKIP_2) | instid1(VALU_DEP_3)
	v_mad_u64_u32 v[28:29], null, s22, v15, v[0:1]
	v_mad_u64_u32 v[10:11], null, s23, v12, v[6:7]
	v_add_co_u32 v27, vcc_lo, v2, v13
	v_mov_b32_e32 v5, v29
	v_add_co_ci_u32_e32 v29, vcc_lo, 0, v3, vcc_lo
	s_delay_alu instid0(VALU_DEP_4) | instskip(NEXT) | instid1(VALU_DEP_3)
	v_mov_b32_e32 v36, v10
	v_mad_u64_u32 v[6:7], null, s23, v14, v[4:5]
	s_delay_alu instid0(VALU_DEP_1) | instskip(SKIP_2) | instid1(VALU_DEP_2)
	v_mad_u64_u32 v[11:12], null, s23, v15, v[5:6]
	v_lshlrev_b64 v[4:5], 4, v[8:9]
	v_mov_b32_e32 v37, v6
	v_add_co_u32 v39, vcc_lo, v4, v0
	s_delay_alu instid0(VALU_DEP_3)
	v_add_co_ci_u32_e32 v40, vcc_lo, v5, v1, vcc_lo
	v_mov_b32_e32 v0, s8
	v_mov_b32_e32 v4, s12
	v_dual_mov_b32 v38, v11 :: v_dual_mov_b32 v1, s9
	v_mov_b32_e32 v6, s14
	v_dual_mov_b32 v2, s10 :: v_dual_mov_b32 v3, s11
	v_mov_b32_e32 v5, s13
	v_mov_b32_e32 v7, s15
	s_cselect_b32 s9, -1, 0
	s_lshl_b64 s[10:11], s[22:23], 8
	s_branch .LBB28_4
.LBB28_2:                               ;   in Loop: Header=BB28_4 Depth=1
	s_delay_alu instid0(VALU_DEP_1) | instskip(NEXT) | instid1(VALU_DEP_3)
	v_dual_mov_b32 v0, v8 :: v_dual_mov_b32 v1, v9
	v_dual_mov_b32 v2, v10 :: v_dual_mov_b32 v3, v11
	;; [unrolled: 1-line block ×4, first 2 shown]
.LBB28_3:                               ;   in Loop: Header=BB28_4 Depth=1
	s_or_b32 exec_lo, exec_lo, s4
	v_add_co_u32 v16, vcc_lo, v16, 64
	v_add_co_ci_u32_e32 v17, vcc_lo, 0, v17, vcc_lo
	v_add_co_u32 v21, vcc_lo, 0x100, v21
	v_add_co_ci_u32_e32 v23, vcc_lo, 0, v23, vcc_lo
	;; [unrolled: 2-line block ×8, first 2 shown]
	v_cmp_le_i64_e32 vcc_lo, s[26:27], v[16:17]
	v_add_co_u32 v39, s4, v39, s10
	s_delay_alu instid0(VALU_DEP_1) | instskip(SKIP_1) | instid1(SALU_CYCLE_1)
	v_add_co_ci_u32_e64 v40, s4, s11, v40, s4
	s_or_b32 s8, vcc_lo, s8
	s_and_not1_b32 exec_lo, exec_lo, s8
	s_cbranch_execz .LBB28_27
.LBB28_4:                               ; =>This Inner Loop Header: Depth=1
	s_and_saveexec_b32 s4, s0
	s_cbranch_execnz .LBB28_8
; %bb.5:                                ;   in Loop: Header=BB28_4 Depth=1
	s_or_b32 exec_lo, exec_lo, s4
	s_and_saveexec_b32 s4, s1
	s_cbranch_execnz .LBB28_13
.LBB28_6:                               ;   in Loop: Header=BB28_4 Depth=1
	s_or_b32 exec_lo, exec_lo, s4
	s_and_saveexec_b32 s4, s2
	s_cbranch_execnz .LBB28_18
.LBB28_7:                               ;   in Loop: Header=BB28_4 Depth=1
	s_or_b32 exec_lo, exec_lo, s4
	s_and_saveexec_b32 s4, s3
	s_cbranch_execz .LBB28_3
	s_branch .LBB28_23
.LBB28_8:                               ;   in Loop: Header=BB28_4 Depth=1
	s_and_not1_b32 vcc_lo, exec_lo, s9
	s_cbranch_vccnz .LBB28_10
; %bb.9:                                ;   in Loop: Header=BB28_4 Depth=1
	v_add_co_u32 v8, vcc_lo, s20, v21
	v_add_co_ci_u32_e32 v9, vcc_lo, s21, v23, vcc_lo
	global_load_b128 v[9:12], v[8:9], off
	v_add_co_u32 v8, vcc_lo, v0, 1
	v_add_co_ci_u32_e32 v13, vcc_lo, 0, v1, vcc_lo
	s_waitcnt vmcnt(0)
	v_cmp_neq_f32_e32 vcc_lo, 0, v9
	s_delay_alu instid0(VALU_DEP_2) | instskip(NEXT) | instid1(VALU_DEP_1)
	v_dual_cndmask_b32 v9, v1, v13 :: v_dual_cndmask_b32 v8, v0, v8
	v_add_co_u32 v13, vcc_lo, v8, 1
	s_delay_alu instid0(VALU_DEP_2) | instskip(SKIP_1) | instid1(VALU_DEP_2)
	v_add_co_ci_u32_e32 v14, vcc_lo, 0, v9, vcc_lo
	v_cmp_neq_f32_e32 vcc_lo, 0, v10
	v_dual_cndmask_b32 v9, v9, v14 :: v_dual_cndmask_b32 v8, v8, v13
	s_delay_alu instid0(VALU_DEP_1) | instskip(NEXT) | instid1(VALU_DEP_2)
	v_add_co_u32 v10, vcc_lo, v8, 1
	v_add_co_ci_u32_e32 v13, vcc_lo, 0, v9, vcc_lo
	v_cmp_neq_f32_e32 vcc_lo, 0, v11
	v_mov_b32_e32 v11, v3
	s_delay_alu instid0(VALU_DEP_3) | instskip(SKIP_1) | instid1(VALU_DEP_2)
	v_dual_cndmask_b32 v9, v9, v13 :: v_dual_cndmask_b32 v8, v8, v10
	v_dual_mov_b32 v10, v2 :: v_dual_mov_b32 v13, v5
	v_add_co_u32 v15, vcc_lo, v8, 1
	s_delay_alu instid0(VALU_DEP_3) | instskip(SKIP_2) | instid1(VALU_DEP_3)
	v_add_co_ci_u32_e32 v41, vcc_lo, 0, v9, vcc_lo
	v_cmp_neq_f32_e32 vcc_lo, 0, v12
	v_mov_b32_e32 v12, v4
	v_dual_mov_b32 v14, v6 :: v_dual_cndmask_b32 v9, v9, v41
	v_dual_cndmask_b32 v8, v8, v15 :: v_dual_mov_b32 v15, v7
	s_cbranch_execz .LBB28_11
	s_branch .LBB28_12
.LBB28_10:                              ;   in Loop: Header=BB28_4 Depth=1
                                        ; implicit-def: $vgpr8_vgpr9_vgpr10_vgpr11_vgpr12_vgpr13_vgpr14_vgpr15
.LBB28_11:                              ;   in Loop: Header=BB28_4 Depth=1
	v_add_co_u32 v8, vcc_lo, s20, v39
	v_add_co_ci_u32_e32 v9, vcc_lo, s21, v40, vcc_lo
	global_load_b32 v10, v[8:9], off
	v_add_co_u32 v8, vcc_lo, s20, v28
	v_add_co_ci_u32_e32 v9, vcc_lo, s21, v38, vcc_lo
	global_load_b32 v11, v[8:9], off
	;; [unrolled: 3-line block ×4, first 2 shown]
	v_add_co_u32 v9, vcc_lo, v0, 1
	v_add_co_ci_u32_e32 v13, vcc_lo, 0, v1, vcc_lo
	s_waitcnt vmcnt(3)
	v_cmp_neq_f32_e32 vcc_lo, 0, v10
	s_delay_alu instid0(VALU_DEP_2) | instskip(SKIP_1) | instid1(VALU_DEP_1)
	v_cndmask_b32_e32 v1, v1, v13, vcc_lo
	v_cndmask_b32_e32 v0, v0, v9, vcc_lo
	v_add_co_u32 v9, vcc_lo, v0, 1
	s_delay_alu instid0(VALU_DEP_3) | instskip(SKIP_2) | instid1(VALU_DEP_2)
	v_add_co_ci_u32_e32 v10, vcc_lo, 0, v1, vcc_lo
	s_waitcnt vmcnt(2)
	v_cmp_neq_f32_e32 vcc_lo, 0, v11
	v_dual_cndmask_b32 v1, v1, v10 :: v_dual_cndmask_b32 v0, v0, v9
	s_delay_alu instid0(VALU_DEP_1) | instskip(NEXT) | instid1(VALU_DEP_2)
	v_add_co_u32 v9, vcc_lo, v0, 1
	v_add_co_ci_u32_e32 v10, vcc_lo, 0, v1, vcc_lo
	s_waitcnt vmcnt(1)
	v_cmp_neq_f32_e32 vcc_lo, 0, v12
	s_delay_alu instid0(VALU_DEP_2) | instskip(NEXT) | instid1(VALU_DEP_1)
	v_dual_cndmask_b32 v1, v1, v10 :: v_dual_cndmask_b32 v0, v0, v9
	v_add_co_u32 v9, vcc_lo, v0, 1
	s_delay_alu instid0(VALU_DEP_2) | instskip(SKIP_2) | instid1(VALU_DEP_2)
	v_add_co_ci_u32_e32 v10, vcc_lo, 0, v1, vcc_lo
	s_waitcnt vmcnt(0)
	v_cmp_neq_f32_e32 vcc_lo, 0, v8
	v_dual_cndmask_b32 v1, v1, v10 :: v_dual_cndmask_b32 v0, v0, v9
	v_dual_mov_b32 v15, v7 :: v_dual_mov_b32 v14, v6
	v_dual_mov_b32 v13, v5 :: v_dual_mov_b32 v12, v4
	v_dual_mov_b32 v11, v3 :: v_dual_mov_b32 v10, v2
	s_delay_alu instid0(VALU_DEP_4)
	v_dual_mov_b32 v9, v1 :: v_dual_mov_b32 v8, v0
.LBB28_12:                              ;   in Loop: Header=BB28_4 Depth=1
	s_delay_alu instid0(VALU_DEP_1) | instskip(NEXT) | instid1(VALU_DEP_3)
	v_dual_mov_b32 v0, v8 :: v_dual_mov_b32 v1, v9
	v_dual_mov_b32 v2, v10 :: v_dual_mov_b32 v3, v11
	;; [unrolled: 1-line block ×4, first 2 shown]
	s_or_b32 exec_lo, exec_lo, s4
	s_and_saveexec_b32 s4, s1
	s_cbranch_execz .LBB28_6
.LBB28_13:                              ;   in Loop: Header=BB28_4 Depth=1
	s_and_not1_b32 vcc_lo, exec_lo, s9
	s_cbranch_vccnz .LBB28_15
; %bb.14:                               ;   in Loop: Header=BB28_4 Depth=1
	v_add_co_u32 v8, vcc_lo, s20, v32
	v_add_co_ci_u32_e32 v9, vcc_lo, s21, v33, vcc_lo
	v_add_co_u32 v12, vcc_lo, v2, 1
	v_add_co_ci_u32_e32 v13, vcc_lo, 0, v3, vcc_lo
	global_load_b128 v[8:11], v[8:9], off
	s_waitcnt vmcnt(0)
	v_cmp_neq_f32_e32 vcc_lo, 0, v8
	v_cndmask_b32_e32 v12, v2, v12, vcc_lo
	v_cndmask_b32_e32 v8, v3, v13, vcc_lo
	s_delay_alu instid0(VALU_DEP_2) | instskip(NEXT) | instid1(VALU_DEP_2)
	v_add_co_u32 v13, vcc_lo, v12, 1
	v_add_co_ci_u32_e32 v14, vcc_lo, 0, v8, vcc_lo
	v_cmp_neq_f32_e32 vcc_lo, 0, v9
	s_delay_alu instid0(VALU_DEP_3) | instskip(NEXT) | instid1(VALU_DEP_3)
	v_cndmask_b32_e32 v9, v12, v13, vcc_lo
	v_cndmask_b32_e32 v8, v8, v14, vcc_lo
	v_mov_b32_e32 v14, v6
	s_delay_alu instid0(VALU_DEP_3) | instskip(NEXT) | instid1(VALU_DEP_3)
	v_add_co_u32 v12, vcc_lo, v9, 1
	v_add_co_ci_u32_e32 v13, vcc_lo, 0, v8, vcc_lo
	v_cmp_neq_f32_e32 vcc_lo, 0, v10
	s_delay_alu instid0(VALU_DEP_2) | instskip(SKIP_2) | instid1(VALU_DEP_3)
	v_dual_cndmask_b32 v15, v9, v12 :: v_dual_cndmask_b32 v10, v8, v13
	v_dual_mov_b32 v9, v1 :: v_dual_mov_b32 v12, v4
	v_mov_b32_e32 v13, v5
	v_add_co_u32 v41, vcc_lo, v15, 1
	s_delay_alu instid0(VALU_DEP_4) | instskip(SKIP_1) | instid1(VALU_DEP_2)
	v_add_co_ci_u32_e32 v42, vcc_lo, 0, v10, vcc_lo
	v_cmp_neq_f32_e32 vcc_lo, 0, v11
	v_dual_mov_b32 v8, v0 :: v_dual_cndmask_b32 v11, v10, v42
	s_delay_alu instid0(VALU_DEP_4)
	v_cndmask_b32_e32 v10, v15, v41, vcc_lo
	v_mov_b32_e32 v15, v7
	s_cbranch_execz .LBB28_16
	s_branch .LBB28_17
.LBB28_15:                              ;   in Loop: Header=BB28_4 Depth=1
                                        ; implicit-def: $vgpr8_vgpr9_vgpr10_vgpr11_vgpr12_vgpr13_vgpr14_vgpr15
.LBB28_16:                              ;   in Loop: Header=BB28_4 Depth=1
	v_add_co_u32 v8, vcc_lo, s20, v39
	v_add_co_ci_u32_e32 v9, vcc_lo, s21, v40, vcc_lo
	global_load_b32 v10, v[8:9], off offset:256
	v_add_co_u32 v8, vcc_lo, s20, v28
	v_add_co_ci_u32_e32 v9, vcc_lo, s21, v38, vcc_lo
	global_load_b32 v11, v[8:9], off offset:256
	;; [unrolled: 3-line block ×4, first 2 shown]
	v_add_co_u32 v9, vcc_lo, v2, 1
	v_add_co_ci_u32_e32 v13, vcc_lo, 0, v3, vcc_lo
	s_waitcnt vmcnt(3)
	v_cmp_neq_f32_e32 vcc_lo, 0, v10
	s_delay_alu instid0(VALU_DEP_2) | instskip(SKIP_1) | instid1(VALU_DEP_1)
	v_cndmask_b32_e32 v3, v3, v13, vcc_lo
	v_cndmask_b32_e32 v2, v2, v9, vcc_lo
	v_add_co_u32 v9, vcc_lo, v2, 1
	s_delay_alu instid0(VALU_DEP_3) | instskip(SKIP_2) | instid1(VALU_DEP_2)
	v_add_co_ci_u32_e32 v10, vcc_lo, 0, v3, vcc_lo
	s_waitcnt vmcnt(2)
	v_cmp_neq_f32_e32 vcc_lo, 0, v11
	v_dual_cndmask_b32 v3, v3, v10 :: v_dual_cndmask_b32 v2, v2, v9
	s_delay_alu instid0(VALU_DEP_1) | instskip(NEXT) | instid1(VALU_DEP_2)
	v_add_co_u32 v9, vcc_lo, v2, 1
	v_add_co_ci_u32_e32 v10, vcc_lo, 0, v3, vcc_lo
	s_waitcnt vmcnt(1)
	v_cmp_neq_f32_e32 vcc_lo, 0, v12
	s_delay_alu instid0(VALU_DEP_2) | instskip(NEXT) | instid1(VALU_DEP_1)
	v_dual_cndmask_b32 v3, v3, v10 :: v_dual_cndmask_b32 v2, v2, v9
	v_add_co_u32 v9, vcc_lo, v2, 1
	s_delay_alu instid0(VALU_DEP_2) | instskip(SKIP_2) | instid1(VALU_DEP_2)
	v_add_co_ci_u32_e32 v10, vcc_lo, 0, v3, vcc_lo
	s_waitcnt vmcnt(0)
	v_cmp_neq_f32_e32 vcc_lo, 0, v8
	v_dual_cndmask_b32 v3, v3, v10 :: v_dual_cndmask_b32 v2, v2, v9
	v_dual_mov_b32 v15, v7 :: v_dual_mov_b32 v14, v6
	v_dual_mov_b32 v13, v5 :: v_dual_mov_b32 v12, v4
	s_delay_alu instid0(VALU_DEP_3)
	v_dual_mov_b32 v11, v3 :: v_dual_mov_b32 v10, v2
	v_dual_mov_b32 v9, v1 :: v_dual_mov_b32 v8, v0
.LBB28_17:                              ;   in Loop: Header=BB28_4 Depth=1
	s_delay_alu instid0(VALU_DEP_1) | instskip(NEXT) | instid1(VALU_DEP_3)
	v_dual_mov_b32 v0, v8 :: v_dual_mov_b32 v1, v9
	v_dual_mov_b32 v2, v10 :: v_dual_mov_b32 v3, v11
	;; [unrolled: 1-line block ×4, first 2 shown]
	s_or_b32 exec_lo, exec_lo, s4
	s_and_saveexec_b32 s4, s2
	s_cbranch_execz .LBB28_7
.LBB28_18:                              ;   in Loop: Header=BB28_4 Depth=1
	s_and_not1_b32 vcc_lo, exec_lo, s9
	s_cbranch_vccnz .LBB28_20
; %bb.19:                               ;   in Loop: Header=BB28_4 Depth=1
	v_add_co_u32 v8, vcc_lo, s20, v34
	v_add_co_ci_u32_e32 v9, vcc_lo, s21, v35, vcc_lo
	v_add_co_u32 v12, vcc_lo, v4, 1
	v_add_co_ci_u32_e32 v13, vcc_lo, 0, v5, vcc_lo
	global_load_b128 v[8:11], v[8:9], off
	s_waitcnt vmcnt(0)
	v_cmp_neq_f32_e32 vcc_lo, 0, v8
	v_cndmask_b32_e32 v12, v4, v12, vcc_lo
	v_cndmask_b32_e32 v8, v5, v13, vcc_lo
	s_delay_alu instid0(VALU_DEP_2) | instskip(NEXT) | instid1(VALU_DEP_2)
	v_add_co_u32 v13, vcc_lo, v12, 1
	v_add_co_ci_u32_e32 v14, vcc_lo, 0, v8, vcc_lo
	v_cmp_neq_f32_e32 vcc_lo, 0, v9
	s_delay_alu instid0(VALU_DEP_3) | instskip(NEXT) | instid1(VALU_DEP_3)
	v_cndmask_b32_e32 v9, v12, v13, vcc_lo
	v_cndmask_b32_e32 v8, v8, v14, vcc_lo
	v_mov_b32_e32 v14, v6
	s_delay_alu instid0(VALU_DEP_3) | instskip(NEXT) | instid1(VALU_DEP_3)
	v_add_co_u32 v12, vcc_lo, v9, 1
	v_add_co_ci_u32_e32 v13, vcc_lo, 0, v8, vcc_lo
	v_cmp_neq_f32_e32 vcc_lo, 0, v10
	s_delay_alu instid0(VALU_DEP_2) | instskip(NEXT) | instid1(VALU_DEP_4)
	v_dual_mov_b32 v10, v2 :: v_dual_cndmask_b32 v13, v8, v13
	v_cndmask_b32_e32 v12, v9, v12, vcc_lo
	v_dual_mov_b32 v8, v0 :: v_dual_mov_b32 v9, v1
	s_delay_alu instid0(VALU_DEP_2) | instskip(NEXT) | instid1(VALU_DEP_4)
	v_add_co_u32 v15, vcc_lo, v12, 1
	v_add_co_ci_u32_e32 v41, vcc_lo, 0, v13, vcc_lo
	v_cmp_neq_f32_e32 vcc_lo, 0, v11
	v_mov_b32_e32 v11, v3
	s_delay_alu instid0(VALU_DEP_3)
	v_dual_cndmask_b32 v13, v13, v41 :: v_dual_cndmask_b32 v12, v12, v15
	v_mov_b32_e32 v15, v7
	s_cbranch_execz .LBB28_21
	s_branch .LBB28_22
.LBB28_20:                              ;   in Loop: Header=BB28_4 Depth=1
                                        ; implicit-def: $vgpr8_vgpr9_vgpr10_vgpr11_vgpr12_vgpr13_vgpr14_vgpr15
.LBB28_21:                              ;   in Loop: Header=BB28_4 Depth=1
	v_add_co_u32 v8, vcc_lo, s20, v39
	v_add_co_ci_u32_e32 v9, vcc_lo, s21, v40, vcc_lo
	global_load_b32 v10, v[8:9], off offset:512
	v_add_co_u32 v8, vcc_lo, s20, v28
	v_add_co_ci_u32_e32 v9, vcc_lo, s21, v38, vcc_lo
	global_load_b32 v11, v[8:9], off offset:512
	;; [unrolled: 3-line block ×4, first 2 shown]
	v_add_co_u32 v9, vcc_lo, v4, 1
	v_add_co_ci_u32_e32 v13, vcc_lo, 0, v5, vcc_lo
	s_waitcnt vmcnt(3)
	v_cmp_neq_f32_e32 vcc_lo, 0, v10
	s_delay_alu instid0(VALU_DEP_2) | instskip(SKIP_1) | instid1(VALU_DEP_1)
	v_cndmask_b32_e32 v5, v5, v13, vcc_lo
	v_cndmask_b32_e32 v4, v4, v9, vcc_lo
	v_add_co_u32 v9, vcc_lo, v4, 1
	s_delay_alu instid0(VALU_DEP_3) | instskip(SKIP_2) | instid1(VALU_DEP_2)
	v_add_co_ci_u32_e32 v10, vcc_lo, 0, v5, vcc_lo
	s_waitcnt vmcnt(2)
	v_cmp_neq_f32_e32 vcc_lo, 0, v11
	v_dual_cndmask_b32 v5, v5, v10 :: v_dual_cndmask_b32 v4, v4, v9
	s_delay_alu instid0(VALU_DEP_1) | instskip(NEXT) | instid1(VALU_DEP_2)
	v_add_co_u32 v9, vcc_lo, v4, 1
	v_add_co_ci_u32_e32 v10, vcc_lo, 0, v5, vcc_lo
	s_waitcnt vmcnt(1)
	v_cmp_neq_f32_e32 vcc_lo, 0, v12
	s_delay_alu instid0(VALU_DEP_2) | instskip(NEXT) | instid1(VALU_DEP_1)
	v_dual_cndmask_b32 v5, v5, v10 :: v_dual_cndmask_b32 v4, v4, v9
	v_add_co_u32 v9, vcc_lo, v4, 1
	s_delay_alu instid0(VALU_DEP_2) | instskip(SKIP_2) | instid1(VALU_DEP_2)
	v_add_co_ci_u32_e32 v10, vcc_lo, 0, v5, vcc_lo
	s_waitcnt vmcnt(0)
	v_cmp_neq_f32_e32 vcc_lo, 0, v8
	v_dual_cndmask_b32 v5, v5, v10 :: v_dual_cndmask_b32 v4, v4, v9
	v_dual_mov_b32 v15, v7 :: v_dual_mov_b32 v14, v6
	v_dual_mov_b32 v11, v3 :: v_dual_mov_b32 v10, v2
	s_delay_alu instid0(VALU_DEP_3)
	v_dual_mov_b32 v13, v5 :: v_dual_mov_b32 v12, v4
	v_dual_mov_b32 v9, v1 :: v_dual_mov_b32 v8, v0
.LBB28_22:                              ;   in Loop: Header=BB28_4 Depth=1
	s_delay_alu instid0(VALU_DEP_1) | instskip(NEXT) | instid1(VALU_DEP_4)
	v_dual_mov_b32 v0, v8 :: v_dual_mov_b32 v1, v9
	v_dual_mov_b32 v2, v10 :: v_dual_mov_b32 v3, v11
	s_delay_alu instid0(VALU_DEP_4)
	v_dual_mov_b32 v4, v12 :: v_dual_mov_b32 v5, v13
	v_dual_mov_b32 v6, v14 :: v_dual_mov_b32 v7, v15
	s_or_b32 exec_lo, exec_lo, s4
	s_and_saveexec_b32 s4, s3
	s_cbranch_execz .LBB28_3
.LBB28_23:                              ;   in Loop: Header=BB28_4 Depth=1
	s_and_not1_b32 vcc_lo, exec_lo, s9
	s_cbranch_vccnz .LBB28_25
; %bb.24:                               ;   in Loop: Header=BB28_4 Depth=1
	v_add_co_u32 v8, vcc_lo, s20, v27
	v_add_co_ci_u32_e32 v9, vcc_lo, s21, v29, vcc_lo
	v_add_co_u32 v12, vcc_lo, v6, 1
	v_add_co_ci_u32_e32 v13, vcc_lo, 0, v7, vcc_lo
	global_load_b128 v[8:11], v[8:9], off
	s_waitcnt vmcnt(0)
	v_cmp_neq_f32_e32 vcc_lo, 0, v8
	v_cndmask_b32_e32 v12, v6, v12, vcc_lo
	v_cndmask_b32_e32 v8, v7, v13, vcc_lo
	s_delay_alu instid0(VALU_DEP_2) | instskip(NEXT) | instid1(VALU_DEP_2)
	v_add_co_u32 v13, vcc_lo, v12, 1
	v_add_co_ci_u32_e32 v14, vcc_lo, 0, v8, vcc_lo
	v_cmp_neq_f32_e32 vcc_lo, 0, v9
	s_delay_alu instid0(VALU_DEP_3) | instskip(NEXT) | instid1(VALU_DEP_3)
	v_cndmask_b32_e32 v9, v12, v13, vcc_lo
	v_cndmask_b32_e32 v8, v8, v14, vcc_lo
	s_delay_alu instid0(VALU_DEP_2) | instskip(NEXT) | instid1(VALU_DEP_2)
	v_add_co_u32 v12, vcc_lo, v9, 1
	v_add_co_ci_u32_e32 v13, vcc_lo, 0, v8, vcc_lo
	v_cmp_neq_f32_e32 vcc_lo, 0, v10
	v_mov_b32_e32 v10, v2
	s_delay_alu instid0(VALU_DEP_3) | instskip(SKIP_1) | instid1(VALU_DEP_2)
	v_dual_cndmask_b32 v14, v9, v12 :: v_dual_cndmask_b32 v13, v8, v13
	v_dual_mov_b32 v9, v1 :: v_dual_mov_b32 v12, v4
	v_add_co_u32 v41, vcc_lo, v14, 1
	s_delay_alu instid0(VALU_DEP_3) | instskip(SKIP_2) | instid1(VALU_DEP_3)
	v_add_co_ci_u32_e32 v15, vcc_lo, 0, v13, vcc_lo
	v_cmp_neq_f32_e32 vcc_lo, 0, v11
	v_dual_mov_b32 v8, v0 :: v_dual_mov_b32 v11, v3
	v_dual_cndmask_b32 v15, v13, v15 :: v_dual_cndmask_b32 v14, v14, v41
	v_mov_b32_e32 v13, v5
	s_cbranch_execnz .LBB28_2
	s_branch .LBB28_26
.LBB28_25:                              ;   in Loop: Header=BB28_4 Depth=1
                                        ; implicit-def: $vgpr8_vgpr9_vgpr10_vgpr11_vgpr12_vgpr13_vgpr14_vgpr15
.LBB28_26:                              ;   in Loop: Header=BB28_4 Depth=1
	v_add_co_u32 v8, vcc_lo, s20, v39
	v_add_co_ci_u32_e32 v9, vcc_lo, s21, v40, vcc_lo
	global_load_b32 v10, v[8:9], off offset:768
	v_add_co_u32 v8, vcc_lo, s20, v28
	v_add_co_ci_u32_e32 v9, vcc_lo, s21, v38, vcc_lo
	global_load_b32 v11, v[8:9], off offset:768
	;; [unrolled: 3-line block ×4, first 2 shown]
	v_add_co_u32 v9, vcc_lo, v6, 1
	v_add_co_ci_u32_e32 v13, vcc_lo, 0, v7, vcc_lo
	s_waitcnt vmcnt(3)
	v_cmp_neq_f32_e32 vcc_lo, 0, v10
	s_delay_alu instid0(VALU_DEP_2) | instskip(SKIP_1) | instid1(VALU_DEP_1)
	v_cndmask_b32_e32 v7, v7, v13, vcc_lo
	v_cndmask_b32_e32 v6, v6, v9, vcc_lo
	v_add_co_u32 v9, vcc_lo, v6, 1
	s_delay_alu instid0(VALU_DEP_3) | instskip(SKIP_2) | instid1(VALU_DEP_2)
	v_add_co_ci_u32_e32 v10, vcc_lo, 0, v7, vcc_lo
	s_waitcnt vmcnt(2)
	v_cmp_neq_f32_e32 vcc_lo, 0, v11
	v_dual_cndmask_b32 v7, v7, v10 :: v_dual_cndmask_b32 v6, v6, v9
	s_delay_alu instid0(VALU_DEP_1) | instskip(NEXT) | instid1(VALU_DEP_2)
	v_add_co_u32 v9, vcc_lo, v6, 1
	v_add_co_ci_u32_e32 v10, vcc_lo, 0, v7, vcc_lo
	s_waitcnt vmcnt(1)
	v_cmp_neq_f32_e32 vcc_lo, 0, v12
	s_delay_alu instid0(VALU_DEP_2) | instskip(NEXT) | instid1(VALU_DEP_1)
	v_dual_cndmask_b32 v7, v7, v10 :: v_dual_cndmask_b32 v6, v6, v9
	v_add_co_u32 v9, vcc_lo, v6, 1
	s_delay_alu instid0(VALU_DEP_2) | instskip(SKIP_2) | instid1(VALU_DEP_2)
	v_add_co_ci_u32_e32 v10, vcc_lo, 0, v7, vcc_lo
	s_waitcnt vmcnt(0)
	v_cmp_neq_f32_e32 vcc_lo, 0, v8
	v_dual_cndmask_b32 v7, v7, v10 :: v_dual_cndmask_b32 v6, v6, v9
	s_delay_alu instid0(VALU_DEP_1)
	v_dual_mov_b32 v15, v7 :: v_dual_mov_b32 v14, v6
	v_dual_mov_b32 v13, v5 :: v_dual_mov_b32 v12, v4
	v_dual_mov_b32 v11, v3 :: v_dual_mov_b32 v10, v2
	v_dual_mov_b32 v9, v1 :: v_dual_mov_b32 v8, v0
	s_branch .LBB28_2
.LBB28_27:
	s_or_b32 exec_lo, exec_lo, s8
.LBB28_28:
	s_delay_alu instid0(SALU_CYCLE_1) | instskip(SKIP_1) | instid1(VALU_DEP_1)
	s_or_b32 exec_lo, exec_lo, s29
	v_cmp_lt_i64_e64 s0, s[24:25], 1
	s_and_b32 vcc_lo, exec_lo, s0
	s_cbranch_vccnz .LBB28_126
; %bb.29:
	v_lshlrev_b64 v[8:9], 2, v[16:17]
	s_cmp_eq_u32 s28, 1
	s_mov_b32 s3, exec_lo
	s_cselect_b32 s2, -1, 0
	s_cmp_lg_u32 s28, 1
	s_cselect_b32 s1, -1, 0
	v_add_co_u32 v26, s0, s20, v8
	s_delay_alu instid0(VALU_DEP_1)
	v_add_co_ci_u32_e64 v27, s0, s21, v9, s0
	v_lshlrev_b64 v[8:9], 2, v[18:19]
	v_cmpx_gt_i64_e64 s[16:17], v[18:19]
	s_cbranch_execz .LBB28_53
; %bb.30:
	v_mad_u64_u32 v[10:11], null, v18, s22, 0
	s_delay_alu instid0(VALU_DEP_1) | instskip(NEXT) | instid1(VALU_DEP_1)
	v_mad_u64_u32 v[12:13], null, v18, s23, v[11:12]
	v_mov_b32_e32 v11, v12
	s_delay_alu instid0(VALU_DEP_1) | instskip(NEXT) | instid1(VALU_DEP_1)
	v_lshlrev_b64 v[10:11], 2, v[10:11]
	v_add_co_u32 v10, s0, v26, v10
	s_delay_alu instid0(VALU_DEP_1) | instskip(SKIP_1) | instid1(VALU_DEP_1)
	v_add_co_ci_u32_e64 v11, s0, v27, v11, s0
	v_add_co_u32 v18, s0, s20, v8
	v_add_co_ci_u32_e64 v21, s0, s21, v9, s0
	s_mov_b32 s0, exec_lo
	v_cmpx_gt_i64_e64 s[18:19], v[16:17]
	s_cbranch_execz .LBB28_34
; %bb.31:
	v_dual_mov_b32 v13, v11 :: v_dual_mov_b32 v12, v10
	s_and_not1_b32 vcc_lo, exec_lo, s2
	s_cbranch_vccnz .LBB28_33
; %bb.32:
	v_mul_lo_u32 v14, v17, s22
	v_mul_lo_u32 v15, v16, s23
	v_mad_u64_u32 v[12:13], null, v16, s22, 0
	s_delay_alu instid0(VALU_DEP_1) | instskip(NEXT) | instid1(VALU_DEP_1)
	v_add3_u32 v13, v13, v15, v14
	v_lshlrev_b64 v[12:13], 2, v[12:13]
	s_delay_alu instid0(VALU_DEP_1) | instskip(NEXT) | instid1(VALU_DEP_2)
	v_add_co_u32 v12, vcc_lo, v18, v12
	v_add_co_ci_u32_e32 v13, vcc_lo, v21, v13, vcc_lo
.LBB28_33:
	global_load_b32 v12, v[12:13], off
	s_waitcnt vmcnt(0)
	v_cmp_neq_f32_e32 vcc_lo, 0, v12
	v_cndmask_b32_e64 v12, 0, 1, vcc_lo
	s_delay_alu instid0(VALU_DEP_1)
	v_add_co_u32 v0, vcc_lo, v0, v12
	v_add_co_ci_u32_e32 v1, vcc_lo, 0, v1, vcc_lo
.LBB28_34:
	s_or_b32 exec_lo, exec_lo, s0
	v_or_b32_e32 v12, 1, v16
	v_mov_b32_e32 v13, v17
	s_mov_b32 s0, exec_lo
	s_delay_alu instid0(VALU_DEP_1)
	v_cmpx_gt_i64_e64 s[18:19], v[12:13]
	s_cbranch_execz .LBB28_40
; %bb.35:
	s_and_not1_b32 vcc_lo, exec_lo, s1
	s_cbranch_vccnz .LBB28_37
; %bb.36:
	v_add_co_u32 v14, vcc_lo, v10, 4
	v_add_co_ci_u32_e32 v15, vcc_lo, 0, v11, vcc_lo
	s_cbranch_execz .LBB28_38
	s_branch .LBB28_39
.LBB28_37:
                                        ; implicit-def: $vgpr14_vgpr15
.LBB28_38:
	v_mul_lo_u32 v15, v13, s22
	v_mul_lo_u32 v23, v12, s23
	v_mad_u64_u32 v[13:14], null, v12, s22, 0
	s_delay_alu instid0(VALU_DEP_1) | instskip(NEXT) | instid1(VALU_DEP_1)
	v_add3_u32 v14, v14, v23, v15
	v_lshlrev_b64 v[12:13], 2, v[13:14]
	s_delay_alu instid0(VALU_DEP_1) | instskip(NEXT) | instid1(VALU_DEP_2)
	v_add_co_u32 v14, vcc_lo, v18, v12
	v_add_co_ci_u32_e32 v15, vcc_lo, v21, v13, vcc_lo
.LBB28_39:
	global_load_b32 v12, v[14:15], off
	s_waitcnt vmcnt(0)
	v_cmp_neq_f32_e32 vcc_lo, 0, v12
	v_cndmask_b32_e64 v12, 0, 1, vcc_lo
	s_delay_alu instid0(VALU_DEP_1)
	v_add_co_u32 v0, vcc_lo, v0, v12
	v_add_co_ci_u32_e32 v1, vcc_lo, 0, v1, vcc_lo
.LBB28_40:
	s_or_b32 exec_lo, exec_lo, s0
	v_or_b32_e32 v12, 2, v16
	v_mov_b32_e32 v13, v17
	s_mov_b32 s0, exec_lo
	s_delay_alu instid0(VALU_DEP_1)
	v_cmpx_gt_i64_e64 s[18:19], v[12:13]
	s_cbranch_execz .LBB28_46
; %bb.41:
	s_and_not1_b32 vcc_lo, exec_lo, s1
	s_cbranch_vccnz .LBB28_43
; %bb.42:
	v_add_co_u32 v14, vcc_lo, v10, 8
	v_add_co_ci_u32_e32 v15, vcc_lo, 0, v11, vcc_lo
	s_cbranch_execz .LBB28_44
	s_branch .LBB28_45
.LBB28_43:
                                        ; implicit-def: $vgpr14_vgpr15
.LBB28_44:
	v_mul_lo_u32 v15, v13, s22
	v_mul_lo_u32 v23, v12, s23
	v_mad_u64_u32 v[13:14], null, v12, s22, 0
	s_delay_alu instid0(VALU_DEP_1) | instskip(NEXT) | instid1(VALU_DEP_1)
	v_add3_u32 v14, v14, v23, v15
	v_lshlrev_b64 v[12:13], 2, v[13:14]
	s_delay_alu instid0(VALU_DEP_1) | instskip(NEXT) | instid1(VALU_DEP_2)
	v_add_co_u32 v14, vcc_lo, v18, v12
	v_add_co_ci_u32_e32 v15, vcc_lo, v21, v13, vcc_lo
.LBB28_45:
	global_load_b32 v12, v[14:15], off
	s_waitcnt vmcnt(0)
	v_cmp_neq_f32_e32 vcc_lo, 0, v12
	v_cndmask_b32_e64 v12, 0, 1, vcc_lo
	s_delay_alu instid0(VALU_DEP_1)
	v_add_co_u32 v0, vcc_lo, v0, v12
	v_add_co_ci_u32_e32 v1, vcc_lo, 0, v1, vcc_lo
.LBB28_46:
	s_or_b32 exec_lo, exec_lo, s0
	v_or_b32_e32 v12, 3, v16
	v_mov_b32_e32 v13, v17
	s_mov_b32 s0, exec_lo
	s_delay_alu instid0(VALU_DEP_1)
	v_cmpx_gt_i64_e64 s[18:19], v[12:13]
	s_cbranch_execz .LBB28_52
; %bb.47:
	s_and_not1_b32 vcc_lo, exec_lo, s1
	s_cbranch_vccnz .LBB28_49
; %bb.48:
	v_add_co_u32 v10, vcc_lo, v10, 12
	v_add_co_ci_u32_e32 v11, vcc_lo, 0, v11, vcc_lo
	s_cbranch_execz .LBB28_50
	s_branch .LBB28_51
.LBB28_49:
                                        ; implicit-def: $vgpr10_vgpr11
.LBB28_50:
	v_mul_lo_u32 v13, v13, s22
	v_mul_lo_u32 v14, v12, s23
	v_mad_u64_u32 v[10:11], null, v12, s22, 0
	s_delay_alu instid0(VALU_DEP_1) | instskip(NEXT) | instid1(VALU_DEP_1)
	v_add3_u32 v11, v11, v14, v13
	v_lshlrev_b64 v[10:11], 2, v[10:11]
	s_delay_alu instid0(VALU_DEP_1) | instskip(NEXT) | instid1(VALU_DEP_2)
	v_add_co_u32 v10, vcc_lo, v18, v10
	v_add_co_ci_u32_e32 v11, vcc_lo, v21, v11, vcc_lo
.LBB28_51:
	global_load_b32 v10, v[10:11], off
	s_waitcnt vmcnt(0)
	v_cmp_neq_f32_e32 vcc_lo, 0, v10
	v_cndmask_b32_e64 v10, 0, 1, vcc_lo
	s_delay_alu instid0(VALU_DEP_1)
	v_add_co_u32 v0, vcc_lo, v0, v10
	v_add_co_ci_u32_e32 v1, vcc_lo, 0, v1, vcc_lo
.LBB28_52:
	s_or_b32 exec_lo, exec_lo, s0
.LBB28_53:
	s_delay_alu instid0(SALU_CYCLE_1) | instskip(SKIP_2) | instid1(VALU_DEP_1)
	s_or_b32 exec_lo, exec_lo, s3
	v_mov_b32_e32 v25, v19
	s_mov_b32 s3, exec_lo
	v_cmpx_gt_i64_e64 s[16:17], v[24:25]
	s_cbranch_execz .LBB28_77
; %bb.54:
	v_mad_u64_u32 v[10:11], null, v24, s22, 0
	s_delay_alu instid0(VALU_DEP_1) | instskip(NEXT) | instid1(VALU_DEP_1)
	v_mad_u64_u32 v[12:13], null, v24, s23, v[11:12]
	v_mov_b32_e32 v11, v12
	s_delay_alu instid0(VALU_DEP_1) | instskip(NEXT) | instid1(VALU_DEP_1)
	v_lshlrev_b64 v[10:11], 2, v[10:11]
	v_add_co_u32 v10, s0, v26, v10
	s_delay_alu instid0(VALU_DEP_1) | instskip(SKIP_1) | instid1(VALU_DEP_1)
	v_add_co_ci_u32_e64 v11, s0, v27, v11, s0
	v_add_co_u32 v18, s0, s20, v8
	v_add_co_ci_u32_e64 v21, s0, s21, v9, s0
	s_mov_b32 s0, exec_lo
	v_cmpx_gt_i64_e64 s[18:19], v[16:17]
	s_cbranch_execz .LBB28_58
; %bb.55:
	v_dual_mov_b32 v13, v11 :: v_dual_mov_b32 v12, v10
	s_and_not1_b32 vcc_lo, exec_lo, s2
	s_cbranch_vccnz .LBB28_57
; %bb.56:
	v_mul_lo_u32 v14, v17, s22
	v_mul_lo_u32 v15, v16, s23
	v_mad_u64_u32 v[12:13], null, v16, s22, 0
	s_delay_alu instid0(VALU_DEP_1) | instskip(NEXT) | instid1(VALU_DEP_1)
	v_add3_u32 v13, v13, v15, v14
	v_lshlrev_b64 v[12:13], 2, v[12:13]
	s_delay_alu instid0(VALU_DEP_1) | instskip(NEXT) | instid1(VALU_DEP_2)
	v_add_co_u32 v12, vcc_lo, v18, v12
	v_add_co_ci_u32_e32 v13, vcc_lo, v21, v13, vcc_lo
	s_delay_alu instid0(VALU_DEP_2) | instskip(NEXT) | instid1(VALU_DEP_2)
	v_add_co_u32 v12, vcc_lo, 0x100, v12
	v_add_co_ci_u32_e32 v13, vcc_lo, 0, v13, vcc_lo
.LBB28_57:
	global_load_b32 v12, v[12:13], off
	s_waitcnt vmcnt(0)
	v_cmp_neq_f32_e32 vcc_lo, 0, v12
	v_cndmask_b32_e64 v12, 0, 1, vcc_lo
	s_delay_alu instid0(VALU_DEP_1)
	v_add_co_u32 v2, vcc_lo, v2, v12
	v_add_co_ci_u32_e32 v3, vcc_lo, 0, v3, vcc_lo
.LBB28_58:
	s_or_b32 exec_lo, exec_lo, s0
	v_or_b32_e32 v12, 1, v16
	v_mov_b32_e32 v13, v17
	s_mov_b32 s0, exec_lo
	s_delay_alu instid0(VALU_DEP_1)
	v_cmpx_gt_i64_e64 s[18:19], v[12:13]
	s_cbranch_execz .LBB28_64
; %bb.59:
	s_and_not1_b32 vcc_lo, exec_lo, s1
	s_cbranch_vccnz .LBB28_61
; %bb.60:
	v_add_co_u32 v14, vcc_lo, v10, 4
	v_add_co_ci_u32_e32 v15, vcc_lo, 0, v11, vcc_lo
	s_cbranch_execz .LBB28_62
	s_branch .LBB28_63
.LBB28_61:
                                        ; implicit-def: $vgpr14_vgpr15
.LBB28_62:
	v_mul_lo_u32 v15, v13, s22
	v_mul_lo_u32 v23, v12, s23
	v_mad_u64_u32 v[13:14], null, v12, s22, 0
	s_delay_alu instid0(VALU_DEP_1) | instskip(NEXT) | instid1(VALU_DEP_1)
	v_add3_u32 v14, v14, v23, v15
	v_lshlrev_b64 v[12:13], 2, v[13:14]
	s_delay_alu instid0(VALU_DEP_1) | instskip(NEXT) | instid1(VALU_DEP_2)
	v_add_co_u32 v12, vcc_lo, v18, v12
	v_add_co_ci_u32_e32 v13, vcc_lo, v21, v13, vcc_lo
	s_delay_alu instid0(VALU_DEP_2) | instskip(NEXT) | instid1(VALU_DEP_2)
	v_add_co_u32 v14, vcc_lo, 0x100, v12
	v_add_co_ci_u32_e32 v15, vcc_lo, 0, v13, vcc_lo
.LBB28_63:
	global_load_b32 v12, v[14:15], off
	s_waitcnt vmcnt(0)
	v_cmp_neq_f32_e32 vcc_lo, 0, v12
	v_cndmask_b32_e64 v12, 0, 1, vcc_lo
	s_delay_alu instid0(VALU_DEP_1)
	v_add_co_u32 v2, vcc_lo, v2, v12
	v_add_co_ci_u32_e32 v3, vcc_lo, 0, v3, vcc_lo
.LBB28_64:
	s_or_b32 exec_lo, exec_lo, s0
	v_or_b32_e32 v12, 2, v16
	v_mov_b32_e32 v13, v17
	s_mov_b32 s0, exec_lo
	s_delay_alu instid0(VALU_DEP_1)
	v_cmpx_gt_i64_e64 s[18:19], v[12:13]
	s_cbranch_execz .LBB28_70
; %bb.65:
	s_and_not1_b32 vcc_lo, exec_lo, s1
	s_cbranch_vccnz .LBB28_67
; %bb.66:
	v_add_co_u32 v14, vcc_lo, v10, 8
	v_add_co_ci_u32_e32 v15, vcc_lo, 0, v11, vcc_lo
	s_cbranch_execz .LBB28_68
	s_branch .LBB28_69
.LBB28_67:
                                        ; implicit-def: $vgpr14_vgpr15
.LBB28_68:
	v_mul_lo_u32 v15, v13, s22
	v_mul_lo_u32 v23, v12, s23
	v_mad_u64_u32 v[13:14], null, v12, s22, 0
	s_delay_alu instid0(VALU_DEP_1) | instskip(NEXT) | instid1(VALU_DEP_1)
	v_add3_u32 v14, v14, v23, v15
	v_lshlrev_b64 v[12:13], 2, v[13:14]
	s_delay_alu instid0(VALU_DEP_1) | instskip(NEXT) | instid1(VALU_DEP_2)
	v_add_co_u32 v12, vcc_lo, v18, v12
	v_add_co_ci_u32_e32 v13, vcc_lo, v21, v13, vcc_lo
	s_delay_alu instid0(VALU_DEP_2) | instskip(NEXT) | instid1(VALU_DEP_2)
	v_add_co_u32 v14, vcc_lo, 0x100, v12
	v_add_co_ci_u32_e32 v15, vcc_lo, 0, v13, vcc_lo
.LBB28_69:
	global_load_b32 v12, v[14:15], off
	s_waitcnt vmcnt(0)
	v_cmp_neq_f32_e32 vcc_lo, 0, v12
	v_cndmask_b32_e64 v12, 0, 1, vcc_lo
	s_delay_alu instid0(VALU_DEP_1)
	v_add_co_u32 v2, vcc_lo, v2, v12
	v_add_co_ci_u32_e32 v3, vcc_lo, 0, v3, vcc_lo
.LBB28_70:
	s_or_b32 exec_lo, exec_lo, s0
	v_or_b32_e32 v12, 3, v16
	v_mov_b32_e32 v13, v17
	s_mov_b32 s0, exec_lo
	s_delay_alu instid0(VALU_DEP_1)
	v_cmpx_gt_i64_e64 s[18:19], v[12:13]
	s_cbranch_execz .LBB28_76
; %bb.71:
	s_and_not1_b32 vcc_lo, exec_lo, s1
	s_cbranch_vccnz .LBB28_73
; %bb.72:
	v_add_co_u32 v10, vcc_lo, v10, 12
	v_add_co_ci_u32_e32 v11, vcc_lo, 0, v11, vcc_lo
	s_cbranch_execz .LBB28_74
	s_branch .LBB28_75
.LBB28_73:
                                        ; implicit-def: $vgpr10_vgpr11
.LBB28_74:
	v_mul_lo_u32 v13, v13, s22
	v_mul_lo_u32 v14, v12, s23
	v_mad_u64_u32 v[10:11], null, v12, s22, 0
	s_delay_alu instid0(VALU_DEP_1) | instskip(NEXT) | instid1(VALU_DEP_1)
	v_add3_u32 v11, v11, v14, v13
	v_lshlrev_b64 v[10:11], 2, v[10:11]
	s_delay_alu instid0(VALU_DEP_1) | instskip(NEXT) | instid1(VALU_DEP_2)
	v_add_co_u32 v10, vcc_lo, v18, v10
	v_add_co_ci_u32_e32 v11, vcc_lo, v21, v11, vcc_lo
	s_delay_alu instid0(VALU_DEP_2) | instskip(NEXT) | instid1(VALU_DEP_2)
	v_add_co_u32 v10, vcc_lo, 0x100, v10
	v_add_co_ci_u32_e32 v11, vcc_lo, 0, v11, vcc_lo
.LBB28_75:
	global_load_b32 v10, v[10:11], off
	s_waitcnt vmcnt(0)
	v_cmp_neq_f32_e32 vcc_lo, 0, v10
	v_cndmask_b32_e64 v10, 0, 1, vcc_lo
	s_delay_alu instid0(VALU_DEP_1)
	v_add_co_u32 v2, vcc_lo, v2, v10
	v_add_co_ci_u32_e32 v3, vcc_lo, 0, v3, vcc_lo
.LBB28_76:
	s_or_b32 exec_lo, exec_lo, s0
.LBB28_77:
	s_delay_alu instid0(SALU_CYCLE_1) | instskip(SKIP_2) | instid1(VALU_DEP_1)
	s_or_b32 exec_lo, exec_lo, s3
	v_mov_b32_e32 v23, v19
	s_mov_b32 s3, exec_lo
	v_cmpx_gt_i64_e64 s[16:17], v[22:23]
	s_cbranch_execz .LBB28_101
; %bb.78:
	v_mad_u64_u32 v[10:11], null, v22, s22, 0
	s_delay_alu instid0(VALU_DEP_1) | instskip(NEXT) | instid1(VALU_DEP_1)
	v_mad_u64_u32 v[12:13], null, v22, s23, v[11:12]
	v_mov_b32_e32 v11, v12
	s_delay_alu instid0(VALU_DEP_1) | instskip(NEXT) | instid1(VALU_DEP_1)
	v_lshlrev_b64 v[10:11], 2, v[10:11]
	v_add_co_u32 v10, s0, v26, v10
	s_delay_alu instid0(VALU_DEP_1) | instskip(SKIP_1) | instid1(VALU_DEP_1)
	v_add_co_ci_u32_e64 v11, s0, v27, v11, s0
	v_add_co_u32 v18, s0, s20, v8
	v_add_co_ci_u32_e64 v21, s0, s21, v9, s0
	s_mov_b32 s0, exec_lo
	v_cmpx_gt_i64_e64 s[18:19], v[16:17]
	s_cbranch_execz .LBB28_82
; %bb.79:
	v_dual_mov_b32 v13, v11 :: v_dual_mov_b32 v12, v10
	s_and_not1_b32 vcc_lo, exec_lo, s2
	s_cbranch_vccnz .LBB28_81
; %bb.80:
	v_mul_lo_u32 v14, v17, s22
	v_mul_lo_u32 v15, v16, s23
	v_mad_u64_u32 v[12:13], null, v16, s22, 0
	s_delay_alu instid0(VALU_DEP_1) | instskip(NEXT) | instid1(VALU_DEP_1)
	v_add3_u32 v13, v13, v15, v14
	v_lshlrev_b64 v[12:13], 2, v[12:13]
	s_delay_alu instid0(VALU_DEP_1) | instskip(NEXT) | instid1(VALU_DEP_2)
	v_add_co_u32 v12, vcc_lo, v18, v12
	v_add_co_ci_u32_e32 v13, vcc_lo, v21, v13, vcc_lo
	s_delay_alu instid0(VALU_DEP_2) | instskip(NEXT) | instid1(VALU_DEP_2)
	v_add_co_u32 v12, vcc_lo, 0x200, v12
	v_add_co_ci_u32_e32 v13, vcc_lo, 0, v13, vcc_lo
.LBB28_81:
	global_load_b32 v12, v[12:13], off
	s_waitcnt vmcnt(0)
	v_cmp_neq_f32_e32 vcc_lo, 0, v12
	v_cndmask_b32_e64 v12, 0, 1, vcc_lo
	s_delay_alu instid0(VALU_DEP_1)
	v_add_co_u32 v4, vcc_lo, v4, v12
	v_add_co_ci_u32_e32 v5, vcc_lo, 0, v5, vcc_lo
.LBB28_82:
	s_or_b32 exec_lo, exec_lo, s0
	v_or_b32_e32 v12, 1, v16
	v_mov_b32_e32 v13, v17
	s_mov_b32 s0, exec_lo
	s_delay_alu instid0(VALU_DEP_1)
	v_cmpx_gt_i64_e64 s[18:19], v[12:13]
	s_cbranch_execz .LBB28_88
; %bb.83:
	s_and_not1_b32 vcc_lo, exec_lo, s1
	s_cbranch_vccnz .LBB28_85
; %bb.84:
	v_add_co_u32 v14, vcc_lo, v10, 4
	v_add_co_ci_u32_e32 v15, vcc_lo, 0, v11, vcc_lo
	s_cbranch_execz .LBB28_86
	s_branch .LBB28_87
.LBB28_85:
                                        ; implicit-def: $vgpr14_vgpr15
.LBB28_86:
	v_mul_lo_u32 v15, v13, s22
	v_mul_lo_u32 v22, v12, s23
	v_mad_u64_u32 v[13:14], null, v12, s22, 0
	s_delay_alu instid0(VALU_DEP_1) | instskip(NEXT) | instid1(VALU_DEP_1)
	v_add3_u32 v14, v14, v22, v15
	v_lshlrev_b64 v[12:13], 2, v[13:14]
	s_delay_alu instid0(VALU_DEP_1) | instskip(NEXT) | instid1(VALU_DEP_2)
	v_add_co_u32 v12, vcc_lo, v18, v12
	v_add_co_ci_u32_e32 v13, vcc_lo, v21, v13, vcc_lo
	s_delay_alu instid0(VALU_DEP_2) | instskip(NEXT) | instid1(VALU_DEP_2)
	v_add_co_u32 v14, vcc_lo, 0x200, v12
	v_add_co_ci_u32_e32 v15, vcc_lo, 0, v13, vcc_lo
.LBB28_87:
	global_load_b32 v12, v[14:15], off
	s_waitcnt vmcnt(0)
	v_cmp_neq_f32_e32 vcc_lo, 0, v12
	v_cndmask_b32_e64 v12, 0, 1, vcc_lo
	s_delay_alu instid0(VALU_DEP_1)
	v_add_co_u32 v4, vcc_lo, v4, v12
	v_add_co_ci_u32_e32 v5, vcc_lo, 0, v5, vcc_lo
.LBB28_88:
	s_or_b32 exec_lo, exec_lo, s0
	v_or_b32_e32 v12, 2, v16
	v_mov_b32_e32 v13, v17
	s_mov_b32 s0, exec_lo
	s_delay_alu instid0(VALU_DEP_1)
	v_cmpx_gt_i64_e64 s[18:19], v[12:13]
	s_cbranch_execz .LBB28_94
; %bb.89:
	s_and_not1_b32 vcc_lo, exec_lo, s1
	s_cbranch_vccnz .LBB28_91
; %bb.90:
	v_add_co_u32 v14, vcc_lo, v10, 8
	v_add_co_ci_u32_e32 v15, vcc_lo, 0, v11, vcc_lo
	s_cbranch_execz .LBB28_92
	s_branch .LBB28_93
.LBB28_91:
                                        ; implicit-def: $vgpr14_vgpr15
.LBB28_92:
	v_mul_lo_u32 v15, v13, s22
	v_mul_lo_u32 v22, v12, s23
	v_mad_u64_u32 v[13:14], null, v12, s22, 0
	s_delay_alu instid0(VALU_DEP_1) | instskip(NEXT) | instid1(VALU_DEP_1)
	v_add3_u32 v14, v14, v22, v15
	v_lshlrev_b64 v[12:13], 2, v[13:14]
	s_delay_alu instid0(VALU_DEP_1) | instskip(NEXT) | instid1(VALU_DEP_2)
	v_add_co_u32 v12, vcc_lo, v18, v12
	v_add_co_ci_u32_e32 v13, vcc_lo, v21, v13, vcc_lo
	s_delay_alu instid0(VALU_DEP_2) | instskip(NEXT) | instid1(VALU_DEP_2)
	v_add_co_u32 v14, vcc_lo, 0x200, v12
	v_add_co_ci_u32_e32 v15, vcc_lo, 0, v13, vcc_lo
.LBB28_93:
	global_load_b32 v12, v[14:15], off
	s_waitcnt vmcnt(0)
	v_cmp_neq_f32_e32 vcc_lo, 0, v12
	v_cndmask_b32_e64 v12, 0, 1, vcc_lo
	s_delay_alu instid0(VALU_DEP_1)
	v_add_co_u32 v4, vcc_lo, v4, v12
	v_add_co_ci_u32_e32 v5, vcc_lo, 0, v5, vcc_lo
.LBB28_94:
	s_or_b32 exec_lo, exec_lo, s0
	v_or_b32_e32 v12, 3, v16
	v_mov_b32_e32 v13, v17
	s_mov_b32 s0, exec_lo
	s_delay_alu instid0(VALU_DEP_1)
	v_cmpx_gt_i64_e64 s[18:19], v[12:13]
	s_cbranch_execz .LBB28_100
; %bb.95:
	s_and_not1_b32 vcc_lo, exec_lo, s1
	s_cbranch_vccnz .LBB28_97
; %bb.96:
	v_add_co_u32 v10, vcc_lo, v10, 12
	v_add_co_ci_u32_e32 v11, vcc_lo, 0, v11, vcc_lo
	s_cbranch_execz .LBB28_98
	s_branch .LBB28_99
.LBB28_97:
                                        ; implicit-def: $vgpr10_vgpr11
.LBB28_98:
	v_mul_lo_u32 v13, v13, s22
	v_mul_lo_u32 v14, v12, s23
	v_mad_u64_u32 v[10:11], null, v12, s22, 0
	s_delay_alu instid0(VALU_DEP_1) | instskip(NEXT) | instid1(VALU_DEP_1)
	v_add3_u32 v11, v11, v14, v13
	v_lshlrev_b64 v[10:11], 2, v[10:11]
	s_delay_alu instid0(VALU_DEP_1) | instskip(NEXT) | instid1(VALU_DEP_2)
	v_add_co_u32 v10, vcc_lo, v18, v10
	v_add_co_ci_u32_e32 v11, vcc_lo, v21, v11, vcc_lo
	s_delay_alu instid0(VALU_DEP_2) | instskip(NEXT) | instid1(VALU_DEP_2)
	v_add_co_u32 v10, vcc_lo, 0x200, v10
	v_add_co_ci_u32_e32 v11, vcc_lo, 0, v11, vcc_lo
.LBB28_99:
	global_load_b32 v10, v[10:11], off
	s_waitcnt vmcnt(0)
	v_cmp_neq_f32_e32 vcc_lo, 0, v10
	v_cndmask_b32_e64 v10, 0, 1, vcc_lo
	s_delay_alu instid0(VALU_DEP_1)
	v_add_co_u32 v4, vcc_lo, v4, v10
	v_add_co_ci_u32_e32 v5, vcc_lo, 0, v5, vcc_lo
.LBB28_100:
	s_or_b32 exec_lo, exec_lo, s0
.LBB28_101:
	s_delay_alu instid0(SALU_CYCLE_1) | instskip(SKIP_2) | instid1(VALU_DEP_1)
	s_or_b32 exec_lo, exec_lo, s3
	v_mov_b32_e32 v21, v19
	s_mov_b32 s3, exec_lo
	v_cmpx_gt_i64_e64 s[16:17], v[20:21]
	s_cbranch_execz .LBB28_125
; %bb.102:
	v_mad_u64_u32 v[10:11], null, v20, s22, 0
	s_delay_alu instid0(VALU_DEP_1) | instskip(NEXT) | instid1(VALU_DEP_1)
	v_mad_u64_u32 v[12:13], null, v20, s23, v[11:12]
	v_mov_b32_e32 v11, v12
	s_delay_alu instid0(VALU_DEP_1) | instskip(NEXT) | instid1(VALU_DEP_1)
	v_lshlrev_b64 v[10:11], 2, v[10:11]
	v_add_co_u32 v10, s0, v26, v10
	s_delay_alu instid0(VALU_DEP_1) | instskip(SKIP_1) | instid1(VALU_DEP_1)
	v_add_co_ci_u32_e64 v11, s0, v27, v11, s0
	v_add_co_u32 v14, s0, s20, v8
	v_add_co_ci_u32_e64 v15, s0, s21, v9, s0
	s_mov_b32 s0, exec_lo
	v_cmpx_gt_i64_e64 s[18:19], v[16:17]
	s_cbranch_execz .LBB28_106
; %bb.103:
	v_dual_mov_b32 v8, v10 :: v_dual_mov_b32 v9, v11
	s_and_not1_b32 vcc_lo, exec_lo, s2
	s_cbranch_vccnz .LBB28_105
; %bb.104:
	v_mul_lo_u32 v12, v17, s22
	v_mul_lo_u32 v13, v16, s23
	v_mad_u64_u32 v[8:9], null, v16, s22, 0
	s_delay_alu instid0(VALU_DEP_1) | instskip(NEXT) | instid1(VALU_DEP_1)
	v_add3_u32 v9, v9, v13, v12
	v_lshlrev_b64 v[8:9], 2, v[8:9]
	s_delay_alu instid0(VALU_DEP_1) | instskip(NEXT) | instid1(VALU_DEP_2)
	v_add_co_u32 v8, vcc_lo, v14, v8
	v_add_co_ci_u32_e32 v9, vcc_lo, v15, v9, vcc_lo
	s_delay_alu instid0(VALU_DEP_2) | instskip(NEXT) | instid1(VALU_DEP_2)
	v_add_co_u32 v8, vcc_lo, 0x300, v8
	v_add_co_ci_u32_e32 v9, vcc_lo, 0, v9, vcc_lo
.LBB28_105:
	global_load_b32 v8, v[8:9], off
	s_waitcnt vmcnt(0)
	v_cmp_neq_f32_e32 vcc_lo, 0, v8
	v_cndmask_b32_e64 v8, 0, 1, vcc_lo
	s_delay_alu instid0(VALU_DEP_1)
	v_add_co_u32 v6, vcc_lo, v6, v8
	v_add_co_ci_u32_e32 v7, vcc_lo, 0, v7, vcc_lo
.LBB28_106:
	s_or_b32 exec_lo, exec_lo, s0
	v_or_b32_e32 v8, 1, v16
	v_mov_b32_e32 v9, v17
	v_cndmask_b32_e64 v18, 0, 1, s1
	s_mov_b32 s0, exec_lo
	s_delay_alu instid0(VALU_DEP_2)
	v_cmpx_gt_i64_e64 s[18:19], v[8:9]
	s_cbranch_execz .LBB28_112
; %bb.107:
	s_and_not1_b32 vcc_lo, exec_lo, s1
	s_cbranch_vccnz .LBB28_109
; %bb.108:
	v_add_co_u32 v12, vcc_lo, v10, 4
	v_add_co_ci_u32_e32 v13, vcc_lo, 0, v11, vcc_lo
	s_cbranch_execz .LBB28_110
	s_branch .LBB28_111
.LBB28_109:
                                        ; implicit-def: $vgpr12_vgpr13
.LBB28_110:
	v_mul_lo_u32 v9, v9, s22
	v_mul_lo_u32 v19, v8, s23
	v_mad_u64_u32 v[12:13], null, v8, s22, 0
	s_delay_alu instid0(VALU_DEP_1) | instskip(NEXT) | instid1(VALU_DEP_1)
	v_add3_u32 v13, v13, v19, v9
	v_lshlrev_b64 v[8:9], 2, v[12:13]
	s_delay_alu instid0(VALU_DEP_1) | instskip(NEXT) | instid1(VALU_DEP_2)
	v_add_co_u32 v8, vcc_lo, v14, v8
	v_add_co_ci_u32_e32 v9, vcc_lo, v15, v9, vcc_lo
	s_delay_alu instid0(VALU_DEP_2) | instskip(NEXT) | instid1(VALU_DEP_2)
	v_add_co_u32 v12, vcc_lo, 0x300, v8
	v_add_co_ci_u32_e32 v13, vcc_lo, 0, v9, vcc_lo
.LBB28_111:
	global_load_b32 v8, v[12:13], off
	s_waitcnt vmcnt(0)
	v_cmp_neq_f32_e32 vcc_lo, 0, v8
	v_cndmask_b32_e64 v8, 0, 1, vcc_lo
	s_delay_alu instid0(VALU_DEP_1)
	v_add_co_u32 v6, vcc_lo, v6, v8
	v_add_co_ci_u32_e32 v7, vcc_lo, 0, v7, vcc_lo
.LBB28_112:
	s_or_b32 exec_lo, exec_lo, s0
	v_or_b32_e32 v8, 2, v16
	v_mov_b32_e32 v9, v17
	s_mov_b32 s0, exec_lo
	s_delay_alu instid0(VALU_DEP_1)
	v_cmpx_gt_i64_e64 s[18:19], v[8:9]
	s_cbranch_execz .LBB28_118
; %bb.113:
	v_cmp_ne_u32_e32 vcc_lo, 1, v18
	s_cbranch_vccnz .LBB28_115
; %bb.114:
	v_add_co_u32 v12, vcc_lo, v10, 8
	v_add_co_ci_u32_e32 v13, vcc_lo, 0, v11, vcc_lo
	s_cbranch_execz .LBB28_116
	s_branch .LBB28_117
.LBB28_115:
                                        ; implicit-def: $vgpr12_vgpr13
.LBB28_116:
	v_mul_lo_u32 v9, v9, s22
	v_mul_lo_u32 v19, v8, s23
	v_mad_u64_u32 v[12:13], null, v8, s22, 0
	s_delay_alu instid0(VALU_DEP_1) | instskip(NEXT) | instid1(VALU_DEP_1)
	v_add3_u32 v13, v13, v19, v9
	v_lshlrev_b64 v[8:9], 2, v[12:13]
	s_delay_alu instid0(VALU_DEP_1) | instskip(NEXT) | instid1(VALU_DEP_2)
	v_add_co_u32 v8, vcc_lo, v14, v8
	v_add_co_ci_u32_e32 v9, vcc_lo, v15, v9, vcc_lo
	s_delay_alu instid0(VALU_DEP_2) | instskip(NEXT) | instid1(VALU_DEP_2)
	v_add_co_u32 v12, vcc_lo, 0x300, v8
	v_add_co_ci_u32_e32 v13, vcc_lo, 0, v9, vcc_lo
.LBB28_117:
	global_load_b32 v8, v[12:13], off
	s_waitcnt vmcnt(0)
	v_cmp_neq_f32_e32 vcc_lo, 0, v8
	v_cndmask_b32_e64 v8, 0, 1, vcc_lo
	s_delay_alu instid0(VALU_DEP_1)
	v_add_co_u32 v6, vcc_lo, v6, v8
	v_add_co_ci_u32_e32 v7, vcc_lo, 0, v7, vcc_lo
.LBB28_118:
	s_or_b32 exec_lo, exec_lo, s0
	v_or_b32_e32 v16, 3, v16
	s_mov_b32 s0, exec_lo
	s_delay_alu instid0(VALU_DEP_1)
	v_cmpx_gt_i64_e64 s[18:19], v[16:17]
	s_cbranch_execz .LBB28_124
; %bb.119:
	v_cmp_ne_u32_e32 vcc_lo, 1, v18
	s_cbranch_vccnz .LBB28_121
; %bb.120:
	v_add_co_u32 v8, vcc_lo, v10, 12
	v_add_co_ci_u32_e32 v9, vcc_lo, 0, v11, vcc_lo
	s_cbranch_execz .LBB28_122
	s_branch .LBB28_123
.LBB28_121:
                                        ; implicit-def: $vgpr8_vgpr9
.LBB28_122:
	v_mul_lo_u32 v10, v17, s22
	v_mul_lo_u32 v11, v16, s23
	v_mad_u64_u32 v[8:9], null, v16, s22, 0
	s_delay_alu instid0(VALU_DEP_1) | instskip(NEXT) | instid1(VALU_DEP_1)
	v_add3_u32 v9, v9, v11, v10
	v_lshlrev_b64 v[8:9], 2, v[8:9]
	s_delay_alu instid0(VALU_DEP_1) | instskip(NEXT) | instid1(VALU_DEP_2)
	v_add_co_u32 v8, vcc_lo, v14, v8
	v_add_co_ci_u32_e32 v9, vcc_lo, v15, v9, vcc_lo
	s_delay_alu instid0(VALU_DEP_2) | instskip(NEXT) | instid1(VALU_DEP_2)
	v_add_co_u32 v8, vcc_lo, 0x300, v8
	v_add_co_ci_u32_e32 v9, vcc_lo, 0, v9, vcc_lo
.LBB28_123:
	global_load_b32 v8, v[8:9], off
	s_waitcnt vmcnt(0)
	v_cmp_neq_f32_e32 vcc_lo, 0, v8
	v_cndmask_b32_e64 v8, 0, 1, vcc_lo
	s_delay_alu instid0(VALU_DEP_1)
	v_add_co_u32 v6, vcc_lo, v6, v8
	v_add_co_ci_u32_e32 v7, vcc_lo, 0, v7, vcc_lo
.LBB28_124:
	s_or_b32 exec_lo, exec_lo, s0
.LBB28_125:
	s_delay_alu instid0(SALU_CYCLE_1)
	s_or_b32 exec_lo, exec_lo, s3
.LBB28_126:
	v_lshlrev_b32_e32 v8, 2, v30
	s_mov_b32 s0, exec_lo
	s_delay_alu instid0(VALU_DEP_1) | instskip(NEXT) | instid1(VALU_DEP_1)
	v_and_or_b32 v8, 0x1fffff00, v8, v31
	v_lshlrev_b32_e32 v8, 3, v8
	ds_store_2addr_stride64_b64 v8, v[0:1], v[2:3] offset1:1
	ds_store_2addr_stride64_b64 v8, v[4:5], v[6:7] offset0:2 offset1:3
	s_waitcnt lgkmcnt(0)
	s_barrier
	buffer_gl0_inv
	v_cmpx_gt_u32_e32 0x100, v30
	s_cbranch_execz .LBB28_129
; %bb.127:
	v_lshlrev_b32_e32 v12, 3, v30
	ds_load_2addr_stride64_b64 v[0:3], v12 offset1:4
	ds_load_2addr_stride64_b64 v[4:7], v12 offset0:8 offset1:12
	ds_load_2addr_stride64_b64 v[8:11], v12 offset0:16 offset1:20
	s_waitcnt lgkmcnt(2)
	v_add_co_u32 v13, vcc_lo, v0, v2
	v_add_co_ci_u32_e32 v14, vcc_lo, v1, v3, vcc_lo
	ds_load_2addr_stride64_b64 v[0:3], v12 offset0:24 offset1:28
	s_waitcnt lgkmcnt(2)
	v_add_co_u32 v4, vcc_lo, v13, v4
	v_add_co_ci_u32_e32 v5, vcc_lo, v14, v5, vcc_lo
	s_delay_alu instid0(VALU_DEP_2) | instskip(NEXT) | instid1(VALU_DEP_2)
	v_add_co_u32 v13, vcc_lo, v4, v6
	v_add_co_ci_u32_e32 v14, vcc_lo, v5, v7, vcc_lo
	ds_load_2addr_stride64_b64 v[4:7], v12 offset0:32 offset1:36
	s_waitcnt lgkmcnt(2)
	v_add_co_u32 v8, vcc_lo, v13, v8
	v_add_co_ci_u32_e32 v9, vcc_lo, v14, v9, vcc_lo
	s_delay_alu instid0(VALU_DEP_2) | instskip(NEXT) | instid1(VALU_DEP_2)
	;; [unrolled: 7-line block ×5, first 2 shown]
	v_add_co_u32 v8, vcc_lo, v8, v10
	v_add_co_ci_u32_e32 v9, vcc_lo, v9, v11, vcc_lo
	s_waitcnt lgkmcnt(1)
	s_delay_alu instid0(VALU_DEP_2) | instskip(NEXT) | instid1(VALU_DEP_2)
	v_add_co_u32 v0, vcc_lo, v8, v0
	v_add_co_ci_u32_e32 v1, vcc_lo, v9, v1, vcc_lo
	s_delay_alu instid0(VALU_DEP_2) | instskip(NEXT) | instid1(VALU_DEP_2)
	v_add_co_u32 v0, vcc_lo, v0, v2
	v_add_co_ci_u32_e32 v1, vcc_lo, v1, v3, vcc_lo
	v_add_co_u32 v2, s0, v30, s5
	s_waitcnt lgkmcnt(0)
	s_delay_alu instid0(VALU_DEP_3) | instskip(NEXT) | instid1(VALU_DEP_3)
	v_add_co_u32 v0, vcc_lo, v0, v4
	v_add_co_ci_u32_e32 v1, vcc_lo, v1, v5, vcc_lo
	v_add_co_ci_u32_e64 v3, null, 0, 0, s0
	s_delay_alu instid0(VALU_DEP_3) | instskip(NEXT) | instid1(VALU_DEP_3)
	v_add_co_u32 v0, vcc_lo, v0, v6
	v_add_co_ci_u32_e32 v1, vcc_lo, v1, v7, vcc_lo
	s_delay_alu instid0(VALU_DEP_3)
	v_cmp_gt_i64_e32 vcc_lo, s[16:17], v[2:3]
	ds_store_b64 v12, v[0:1]
	s_and_b32 exec_lo, exec_lo, vcc_lo
	s_cbranch_execz .LBB28_129
; %bb.128:
	v_lshlrev_b64 v[2:3], 3, v[2:3]
	s_delay_alu instid0(VALU_DEP_1) | instskip(NEXT) | instid1(VALU_DEP_2)
	v_add_co_u32 v2, vcc_lo, s6, v2
	v_add_co_ci_u32_e32 v3, vcc_lo, s7, v3, vcc_lo
	global_store_b64 v[2:3], v[0:1], off
.LBB28_129:
	s_nop 0
	s_sendmsg sendmsg(MSG_DEALLOC_VGPRS)
	s_endpgm
	.section	.rodata,"a",@progbits
	.p2align	6, 0x0
	.amdhsa_kernel _ZN9rocsparseL14nnz_kernel_rowILi64ELi16EllfEEv16rocsparse_order_T2_S2_PKT3_lPT1_
		.amdhsa_group_segment_fixed_size 32768
		.amdhsa_private_segment_fixed_size 0
		.amdhsa_kernarg_size 304
		.amdhsa_user_sgpr_count 15
		.amdhsa_user_sgpr_dispatch_ptr 0
		.amdhsa_user_sgpr_queue_ptr 0
		.amdhsa_user_sgpr_kernarg_segment_ptr 1
		.amdhsa_user_sgpr_dispatch_id 0
		.amdhsa_user_sgpr_private_segment_size 0
		.amdhsa_wavefront_size32 1
		.amdhsa_uses_dynamic_stack 0
		.amdhsa_enable_private_segment 0
		.amdhsa_system_sgpr_workgroup_id_x 1
		.amdhsa_system_sgpr_workgroup_id_y 0
		.amdhsa_system_sgpr_workgroup_id_z 0
		.amdhsa_system_sgpr_workgroup_info 0
		.amdhsa_system_vgpr_workitem_id 1
		.amdhsa_next_free_vgpr 43
		.amdhsa_next_free_sgpr 30
		.amdhsa_reserve_vcc 1
		.amdhsa_float_round_mode_32 0
		.amdhsa_float_round_mode_16_64 0
		.amdhsa_float_denorm_mode_32 3
		.amdhsa_float_denorm_mode_16_64 3
		.amdhsa_dx10_clamp 1
		.amdhsa_ieee_mode 1
		.amdhsa_fp16_overflow 0
		.amdhsa_workgroup_processor_mode 1
		.amdhsa_memory_ordered 1
		.amdhsa_forward_progress 0
		.amdhsa_shared_vgpr_count 0
		.amdhsa_exception_fp_ieee_invalid_op 0
		.amdhsa_exception_fp_denorm_src 0
		.amdhsa_exception_fp_ieee_div_zero 0
		.amdhsa_exception_fp_ieee_overflow 0
		.amdhsa_exception_fp_ieee_underflow 0
		.amdhsa_exception_fp_ieee_inexact 0
		.amdhsa_exception_int_div_zero 0
	.end_amdhsa_kernel
	.section	.text._ZN9rocsparseL14nnz_kernel_rowILi64ELi16EllfEEv16rocsparse_order_T2_S2_PKT3_lPT1_,"axG",@progbits,_ZN9rocsparseL14nnz_kernel_rowILi64ELi16EllfEEv16rocsparse_order_T2_S2_PKT3_lPT1_,comdat
.Lfunc_end28:
	.size	_ZN9rocsparseL14nnz_kernel_rowILi64ELi16EllfEEv16rocsparse_order_T2_S2_PKT3_lPT1_, .Lfunc_end28-_ZN9rocsparseL14nnz_kernel_rowILi64ELi16EllfEEv16rocsparse_order_T2_S2_PKT3_lPT1_
                                        ; -- End function
	.section	.AMDGPU.csdata,"",@progbits
; Kernel info:
; codeLenInByte = 6548
; NumSgprs: 32
; NumVgprs: 43
; ScratchSize: 0
; MemoryBound: 0
; FloatMode: 240
; IeeeMode: 1
; LDSByteSize: 32768 bytes/workgroup (compile time only)
; SGPRBlocks: 3
; VGPRBlocks: 5
; NumSGPRsForWavesPerEU: 32
; NumVGPRsForWavesPerEU: 43
; Occupancy: 16
; WaveLimiterHint : 0
; COMPUTE_PGM_RSRC2:SCRATCH_EN: 0
; COMPUTE_PGM_RSRC2:USER_SGPR: 15
; COMPUTE_PGM_RSRC2:TRAP_HANDLER: 0
; COMPUTE_PGM_RSRC2:TGID_X_EN: 1
; COMPUTE_PGM_RSRC2:TGID_Y_EN: 0
; COMPUTE_PGM_RSRC2:TGID_Z_EN: 0
; COMPUTE_PGM_RSRC2:TIDIG_COMP_CNT: 1
	.section	.text._ZN9rocsparseL14nnz_kernel_colILi256EllfEEv16rocsparse_order_T1_S2_PKT2_lPT0_,"axG",@progbits,_ZN9rocsparseL14nnz_kernel_colILi256EllfEEv16rocsparse_order_T1_S2_PKT2_lPT0_,comdat
	.globl	_ZN9rocsparseL14nnz_kernel_colILi256EllfEEv16rocsparse_order_T1_S2_PKT2_lPT0_ ; -- Begin function _ZN9rocsparseL14nnz_kernel_colILi256EllfEEv16rocsparse_order_T1_S2_PKT2_lPT0_
	.p2align	8
	.type	_ZN9rocsparseL14nnz_kernel_colILi256EllfEEv16rocsparse_order_T1_S2_PKT2_lPT0_,@function
_ZN9rocsparseL14nnz_kernel_colILi256EllfEEv16rocsparse_order_T1_S2_PKT2_lPT0_: ; @_ZN9rocsparseL14nnz_kernel_colILi256EllfEEv16rocsparse_order_T1_S2_PKT2_lPT0_
; %bb.0:
	s_clause 0x2
	s_load_b64 s[10:11], s[0:1], 0x8
	s_load_b32 s3, s[0:1], 0x0
	s_load_b128 s[4:7], s[0:1], 0x18
	v_mov_b32_e32 v1, 0
	s_mov_b32 s8, s15
	s_waitcnt lgkmcnt(0)
	s_ashr_i32 s2, s11, 31
	s_delay_alu instid0(SALU_CYCLE_1) | instskip(NEXT) | instid1(SALU_CYCLE_1)
	s_lshr_b32 s2, s2, 24
	s_add_u32 s9, s10, s2
	v_cmp_gt_i64_e64 s2, 0x100, s[10:11]
	s_addc_u32 s13, s11, 0
	s_and_b32 s12, s9, 0xffffff00
	s_cmp_eq_u32 s3, 1
	s_mov_b32 s9, 0
	s_cbranch_scc1 .LBB29_6
; %bb.1:
	v_mov_b32_e32 v2, 0
	v_mov_b32_e32 v3, 0
	s_and_b32 vcc_lo, exec_lo, s2
	s_cbranch_vccnz .LBB29_7
; %bb.2:
	v_mad_u64_u32 v[2:3], null, s6, v0, 0
	s_lshl_b64 s[2:3], s[8:9], 2
	s_mov_b64 s[14:15], 0
	s_add_u32 s2, s4, s2
	s_addc_u32 s3, s5, s3
	s_delay_alu instid0(VALU_DEP_1) | instskip(NEXT) | instid1(VALU_DEP_1)
	v_mad_u64_u32 v[4:5], null, s7, v0, v[3:4]
	v_mov_b32_e32 v3, v4
	s_delay_alu instid0(VALU_DEP_1) | instskip(SKIP_2) | instid1(VALU_DEP_3)
	v_lshlrev_b64 v[4:5], 2, v[2:3]
	v_mov_b32_e32 v2, 0
	v_mov_b32_e32 v3, 0
	v_add_co_u32 v4, vcc_lo, s2, v4
	s_delay_alu instid0(VALU_DEP_4)
	v_add_co_ci_u32_e32 v5, vcc_lo, s3, v5, vcc_lo
	s_lshl_b64 s[2:3], s[6:7], 10
	s_set_inst_prefetch_distance 0x1
	s_branch .LBB29_4
	.p2align	6
.LBB29_3:                               ;   in Loop: Header=BB29_4 Depth=1
	s_or_b32 exec_lo, exec_lo, s16
	s_add_u32 s14, s14, 0x100
	s_addc_u32 s15, s15, 0
	v_add_co_u32 v4, vcc_lo, v4, s2
	v_cmp_ge_i64_e64 s16, s[14:15], s[12:13]
	v_add_co_ci_u32_e32 v5, vcc_lo, s3, v5, vcc_lo
	s_delay_alu instid0(VALU_DEP_2)
	s_and_b32 vcc_lo, exec_lo, s16
	s_cbranch_vccnz .LBB29_7
.LBB29_4:                               ; =>This Inner Loop Header: Depth=1
	v_add_co_u32 v6, s16, v0, s14
	s_delay_alu instid0(VALU_DEP_1) | instskip(SKIP_1) | instid1(VALU_DEP_1)
	v_add_co_ci_u32_e64 v7, null, 0, s15, s16
	s_mov_b32 s16, exec_lo
	v_cmpx_gt_i64_e64 s[10:11], v[6:7]
	s_cbranch_execz .LBB29_3
; %bb.5:                                ;   in Loop: Header=BB29_4 Depth=1
	global_load_b32 v6, v[4:5], off
	s_waitcnt vmcnt(0)
	v_cmp_neq_f32_e32 vcc_lo, 0, v6
	v_cndmask_b32_e64 v6, 0, 1, vcc_lo
	s_delay_alu instid0(VALU_DEP_1)
	v_add_co_u32 v2, vcc_lo, v2, v6
	v_add_co_ci_u32_e32 v3, vcc_lo, 0, v3, vcc_lo
	s_branch .LBB29_3
.LBB29_6:
	s_mov_b32 s3, s9
                                        ; implicit-def: $vgpr2_vgpr3
                                        ; implicit-def: $vgpr4_vgpr5
	s_cbranch_execnz .LBB29_10
	s_branch .LBB29_16
.LBB29_7:
	s_set_inst_prefetch_distance 0x2
	v_add_co_u32 v6, s2, s12, v0
	s_delay_alu instid0(VALU_DEP_1) | instskip(SKIP_3) | instid1(VALU_DEP_1)
	v_add_co_ci_u32_e64 v7, null, s13, 0, s2
	s_mov_b32 s2, 0
	s_mov_b32 s3, 0
	s_mov_b32 s14, exec_lo
                                        ; implicit-def: $vgpr4_vgpr5
	v_cmpx_gt_i64_e64 s[10:11], v[6:7]
	s_xor_b32 s14, exec_lo, s14
; %bb.8:
	v_mul_lo_u32 v7, v7, s6
	v_mul_lo_u32 v8, v6, s7
	v_mad_u64_u32 v[4:5], null, v6, s6, 0
	s_lshl_b64 s[16:17], s[8:9], 2
	s_mov_b32 s3, exec_lo
	s_add_u32 s15, s16, s4
	s_addc_u32 s16, s17, s5
	s_delay_alu instid0(VALU_DEP_1) | instskip(NEXT) | instid1(VALU_DEP_1)
	v_add3_u32 v5, v5, v8, v7
	v_lshlrev_b64 v[4:5], 2, v[4:5]
	s_delay_alu instid0(VALU_DEP_1) | instskip(NEXT) | instid1(VALU_DEP_2)
	v_add_co_u32 v4, vcc_lo, s15, v4
	v_add_co_ci_u32_e32 v5, vcc_lo, s16, v5, vcc_lo
; %bb.9:
	s_or_b32 exec_lo, exec_lo, s14
	s_delay_alu instid0(SALU_CYCLE_1)
	s_and_b32 vcc_lo, exec_lo, s2
	s_cbranch_vccz .LBB29_16
.LBB29_10:
	v_cmp_gt_i64_e32 vcc_lo, s[10:11], v[0:1]
	s_mul_i32 s2, s8, s7
	s_mul_hi_u32 s7, s8, s6
	s_mul_i32 s6, s8, s6
	s_add_i32 s7, s7, s2
	v_dual_mov_b32 v2, 0 :: v_dual_cndmask_b32 v1, 0, v0
	s_lshl_b64 s[6:7], s[6:7], 2
	v_mov_b32_e32 v3, 0
	s_add_u32 s2, s4, s6
	s_addc_u32 s4, s5, s7
	v_lshlrev_b32_e32 v1, 2, v1
	v_cmp_gt_i64_e64 s5, 0x100, s[10:11]
	s_delay_alu instid0(VALU_DEP_2) | instskip(NEXT) | instid1(VALU_DEP_1)
	v_add_co_u32 v6, s2, s2, v1
	v_add_co_ci_u32_e64 v7, null, s4, 0, s2
	s_delay_alu instid0(VALU_DEP_3)
	s_and_b32 vcc_lo, exec_lo, s5
	s_cbranch_vccnz .LBB29_13
; %bb.11:
	v_mov_b32_e32 v2, 0
	v_dual_mov_b32 v3, 0 :: v_dual_mov_b32 v4, v6
	v_mov_b32_e32 v5, v7
	s_mov_b64 s[4:5], 0
	.p2align	6
.LBB29_12:                              ; =>This Inner Loop Header: Depth=1
	global_load_b32 v1, v[4:5], off
	v_add_co_u32 v4, vcc_lo, 0x400, v4
	v_add_co_ci_u32_e32 v5, vcc_lo, 0, v5, vcc_lo
	s_add_u32 s4, s4, 0x100
	s_addc_u32 s5, s5, 0
	s_delay_alu instid0(SALU_CYCLE_1) | instskip(SKIP_3) | instid1(VALU_DEP_3)
	v_cmp_ge_i64_e64 s2, s[4:5], s[12:13]
	s_waitcnt vmcnt(0)
	v_cmp_neq_f32_e32 vcc_lo, 0, v1
	v_cndmask_b32_e64 v1, 0, 1, vcc_lo
	s_and_b32 vcc_lo, exec_lo, s2
	s_delay_alu instid0(VALU_DEP_1) | instskip(NEXT) | instid1(VALU_DEP_1)
	v_add_co_u32 v2, s2, v2, v1
	v_add_co_ci_u32_e64 v3, s2, 0, v3, s2
	s_cbranch_vccz .LBB29_12
.LBB29_13:
	v_add_co_u32 v4, s2, s12, v0
	s_delay_alu instid0(VALU_DEP_1) | instskip(NEXT) | instid1(VALU_DEP_1)
	v_add_co_ci_u32_e64 v5, null, s13, 0, s2
	v_cmp_gt_i64_e32 vcc_lo, s[10:11], v[4:5]
                                        ; implicit-def: $vgpr4_vgpr5
	s_and_saveexec_b32 s2, vcc_lo
; %bb.14:
	s_lshl_b64 s[4:5], s[12:13], 2
	s_or_b32 s3, s3, exec_lo
	v_add_co_u32 v4, vcc_lo, v6, s4
	v_add_co_ci_u32_e32 v5, vcc_lo, s5, v7, vcc_lo
; %bb.15:
	s_or_b32 exec_lo, exec_lo, s2
.LBB29_16:
	s_and_saveexec_b32 s2, s3
	s_cbranch_execz .LBB29_18
; %bb.17:
	global_load_b32 v1, v[4:5], off
	s_waitcnt vmcnt(0)
	v_cmp_neq_f32_e32 vcc_lo, 0, v1
	v_cndmask_b32_e64 v1, 0, 1, vcc_lo
	s_delay_alu instid0(VALU_DEP_1)
	v_add_co_u32 v2, vcc_lo, v2, v1
	v_add_co_ci_u32_e32 v3, vcc_lo, 0, v3, vcc_lo
.LBB29_18:
	s_or_b32 exec_lo, exec_lo, s2
	v_cmp_gt_i64_e64 s2, 0x100, s[10:11]
	v_lshlrev_b32_e32 v4, 3, v0
	s_mov_b32 s3, -1
	ds_store_b64 v4, v[2:3]
	s_and_b32 vcc_lo, exec_lo, s2
	v_cmp_eq_u32_e64 s2, 0, v0
	s_waitcnt lgkmcnt(0)
	s_cbranch_vccz .LBB29_28
; %bb.19:
	v_cmp_gt_i64_e64 s3, s[10:11], 1
	s_mov_b64 s[4:5], 1
	s_barrier
	buffer_gl0_inv
	s_and_b32 s2, s2, s3
	s_delay_alu instid0(SALU_CYCLE_1)
	s_and_saveexec_b32 s5, s2
	s_cbranch_execz .LBB29_27
; %bb.20:
	v_mov_b32_e32 v1, 0
	s_add_u32 s12, s10, -1
	s_addc_u32 s3, s11, -1
	s_add_u32 s6, s10, -2
	s_addc_u32 s7, s11, -1
	ds_load_b64 v[1:2], v1
	v_cmp_lt_u64_e64 s2, s[6:7], 7
	s_delay_alu instid0(VALU_DEP_1)
	s_and_b32 vcc_lo, exec_lo, s2
	s_cbranch_vccnz .LBB29_23
; %bb.21:
	s_and_b32 s2, s12, -8
	s_mov_b64 s[6:7], 0
	s_mov_b32 s10, 8
	s_set_inst_prefetch_distance 0x1
	.p2align	6
.LBB29_22:                              ; =>This Inner Loop Header: Depth=1
	v_mov_b32_e32 v3, s10
	s_add_u32 s14, s6, 8
	s_addc_u32 s15, s7, 0
	s_add_i32 s10, s10, 64
	s_add_u32 s4, s6, 9
	ds_load_2addr_b64 v[5:8], v3 offset1:1
	ds_load_2addr_b64 v[9:12], v3 offset0:2 offset1:3
	ds_load_2addr_b64 v[13:16], v3 offset0:4 offset1:5
	s_cmp_lg_u64 s[2:3], s[14:15]
	s_mov_b64 s[6:7], s[14:15]
	s_waitcnt lgkmcnt(2)
	v_add_co_u32 v1, vcc_lo, v1, v5
	v_add_co_ci_u32_e32 v2, vcc_lo, v2, v6, vcc_lo
	s_delay_alu instid0(VALU_DEP_2) | instskip(NEXT) | instid1(VALU_DEP_2)
	v_add_co_u32 v1, vcc_lo, v1, v7
	v_add_co_ci_u32_e32 v2, vcc_lo, v2, v8, vcc_lo
	ds_load_2addr_b64 v[5:8], v3 offset0:6 offset1:7
	s_waitcnt lgkmcnt(2)
	v_add_co_u32 v1, vcc_lo, v1, v9
	v_add_co_ci_u32_e32 v2, vcc_lo, v2, v10, vcc_lo
	s_delay_alu instid0(VALU_DEP_2) | instskip(NEXT) | instid1(VALU_DEP_2)
	v_add_co_u32 v1, vcc_lo, v1, v11
	v_add_co_ci_u32_e32 v2, vcc_lo, v2, v12, vcc_lo
	s_waitcnt lgkmcnt(1)
	s_delay_alu instid0(VALU_DEP_2) | instskip(NEXT) | instid1(VALU_DEP_2)
	v_add_co_u32 v1, vcc_lo, v1, v13
	v_add_co_ci_u32_e32 v2, vcc_lo, v2, v14, vcc_lo
	s_delay_alu instid0(VALU_DEP_2) | instskip(NEXT) | instid1(VALU_DEP_2)
	v_add_co_u32 v1, vcc_lo, v1, v15
	v_add_co_ci_u32_e32 v2, vcc_lo, v2, v16, vcc_lo
	s_waitcnt lgkmcnt(0)
	s_delay_alu instid0(VALU_DEP_2) | instskip(NEXT) | instid1(VALU_DEP_2)
	v_add_co_u32 v1, vcc_lo, v1, v5
	v_add_co_ci_u32_e32 v2, vcc_lo, v2, v6, vcc_lo
	s_delay_alu instid0(VALU_DEP_2) | instskip(NEXT) | instid1(VALU_DEP_2)
	v_add_co_u32 v1, vcc_lo, v1, v7
	v_add_co_ci_u32_e32 v2, vcc_lo, v2, v8, vcc_lo
	s_cbranch_scc1 .LBB29_22
.LBB29_23:
	s_set_inst_prefetch_distance 0x2
	s_and_b32 s2, s12, 7
	s_mov_b32 s3, 0
	s_delay_alu instid0(SALU_CYCLE_1)
	s_cmp_eq_u64 s[2:3], 0
	s_cbranch_scc1 .LBB29_26
; %bb.24:
	s_lshl_b32 s4, s4, 3
.LBB29_25:                              ; =>This Inner Loop Header: Depth=1
	s_delay_alu instid0(SALU_CYCLE_1) | instskip(SKIP_3) | instid1(SALU_CYCLE_1)
	v_mov_b32_e32 v3, s4
	s_add_i32 s4, s4, 8
	s_add_u32 s2, s2, -1
	s_addc_u32 s3, s3, -1
	s_cmp_lg_u64 s[2:3], 0
	ds_load_b64 v[5:6], v3
	s_waitcnt lgkmcnt(0)
	v_add_co_u32 v1, vcc_lo, v1, v5
	v_add_co_ci_u32_e32 v2, vcc_lo, v2, v6, vcc_lo
	s_cbranch_scc1 .LBB29_25
.LBB29_26:
	v_mov_b32_e32 v3, 0
	s_waitcnt lgkmcnt(0)
	ds_store_b64 v3, v[1:2]
.LBB29_27:
	s_or_b32 exec_lo, exec_lo, s5
	s_mov_b32 s3, 0
	s_waitcnt lgkmcnt(0)
	s_barrier
.LBB29_28:
	s_and_b32 vcc_lo, exec_lo, s3
	s_cbranch_vccz .LBB29_46
; %bb.29:
	s_mov_b32 s2, exec_lo
	s_barrier
	buffer_gl0_inv
	v_cmpx_gt_u32_e32 0x80, v0
	s_cbranch_execz .LBB29_31
; %bb.30:
	ds_load_2addr_stride64_b64 v[5:8], v4 offset1:2
	s_waitcnt lgkmcnt(0)
	v_add_co_u32 v1, vcc_lo, v5, v7
	v_add_co_ci_u32_e32 v2, vcc_lo, v6, v8, vcc_lo
	ds_store_b64 v4, v[1:2]
.LBB29_31:
	s_or_b32 exec_lo, exec_lo, s2
	s_delay_alu instid0(SALU_CYCLE_1)
	s_mov_b32 s2, exec_lo
	s_waitcnt lgkmcnt(0)
	s_barrier
	buffer_gl0_inv
	v_cmpx_gt_u32_e32 64, v0
	s_cbranch_execz .LBB29_33
; %bb.32:
	ds_load_2addr_stride64_b64 v[5:8], v4 offset1:1
	s_waitcnt lgkmcnt(0)
	v_add_co_u32 v1, vcc_lo, v5, v7
	v_add_co_ci_u32_e32 v2, vcc_lo, v6, v8, vcc_lo
	ds_store_b64 v4, v[1:2]
.LBB29_33:
	s_or_b32 exec_lo, exec_lo, s2
	s_delay_alu instid0(SALU_CYCLE_1)
	s_mov_b32 s2, exec_lo
	s_waitcnt lgkmcnt(0)
	s_barrier
	buffer_gl0_inv
	v_cmpx_gt_u32_e32 32, v0
	s_cbranch_execz .LBB29_35
; %bb.34:
	ds_load_2addr_b64 v[5:8], v4 offset1:32
	s_waitcnt lgkmcnt(0)
	v_add_co_u32 v1, vcc_lo, v5, v7
	v_add_co_ci_u32_e32 v2, vcc_lo, v6, v8, vcc_lo
	ds_store_b64 v4, v[1:2]
.LBB29_35:
	s_or_b32 exec_lo, exec_lo, s2
	s_delay_alu instid0(SALU_CYCLE_1)
	s_mov_b32 s2, exec_lo
	s_waitcnt lgkmcnt(0)
	s_barrier
	buffer_gl0_inv
	v_cmpx_gt_u32_e32 16, v0
	s_cbranch_execz .LBB29_37
; %bb.36:
	ds_load_2addr_b64 v[5:8], v4 offset1:16
	s_waitcnt lgkmcnt(0)
	v_add_co_u32 v1, vcc_lo, v5, v7
	v_add_co_ci_u32_e32 v2, vcc_lo, v6, v8, vcc_lo
	ds_store_b64 v4, v[1:2]
.LBB29_37:
	;; [unrolled: 15-line block ×5, first 2 shown]
	s_or_b32 exec_lo, exec_lo, s2
	s_delay_alu instid0(SALU_CYCLE_1)
	s_mov_b32 s2, exec_lo
	s_waitcnt lgkmcnt(0)
	s_barrier
	buffer_gl0_inv
	v_cmpx_eq_u32_e32 0, v0
	s_cbranch_execz .LBB29_45
; %bb.44:
	v_mov_b32_e32 v5, 0
	ds_load_b128 v[1:4], v5
	s_waitcnt lgkmcnt(0)
	v_add_co_u32 v1, vcc_lo, v1, v3
	v_add_co_ci_u32_e32 v2, vcc_lo, v2, v4, vcc_lo
	ds_store_b64 v5, v[1:2]
.LBB29_45:
	s_or_b32 exec_lo, exec_lo, s2
	s_waitcnt lgkmcnt(0)
	s_barrier
.LBB29_46:
	buffer_gl0_inv
	s_mov_b32 s2, exec_lo
	v_cmpx_eq_u32_e32 0, v0
	s_cbranch_execz .LBB29_48
; %bb.47:
	v_mov_b32_e32 v2, 0
	s_load_b64 s[0:1], s[0:1], 0x28
	s_lshl_b64 s[2:3], s[8:9], 3
	ds_load_b64 v[0:1], v2
	s_waitcnt lgkmcnt(0)
	s_add_u32 s0, s0, s2
	s_addc_u32 s1, s1, s3
	global_store_b64 v2, v[0:1], s[0:1]
.LBB29_48:
	s_nop 0
	s_sendmsg sendmsg(MSG_DEALLOC_VGPRS)
	s_endpgm
	.section	.rodata,"a",@progbits
	.p2align	6, 0x0
	.amdhsa_kernel _ZN9rocsparseL14nnz_kernel_colILi256EllfEEv16rocsparse_order_T1_S2_PKT2_lPT0_
		.amdhsa_group_segment_fixed_size 2048
		.amdhsa_private_segment_fixed_size 0
		.amdhsa_kernarg_size 48
		.amdhsa_user_sgpr_count 15
		.amdhsa_user_sgpr_dispatch_ptr 0
		.amdhsa_user_sgpr_queue_ptr 0
		.amdhsa_user_sgpr_kernarg_segment_ptr 1
		.amdhsa_user_sgpr_dispatch_id 0
		.amdhsa_user_sgpr_private_segment_size 0
		.amdhsa_wavefront_size32 1
		.amdhsa_uses_dynamic_stack 0
		.amdhsa_enable_private_segment 0
		.amdhsa_system_sgpr_workgroup_id_x 1
		.amdhsa_system_sgpr_workgroup_id_y 0
		.amdhsa_system_sgpr_workgroup_id_z 0
		.amdhsa_system_sgpr_workgroup_info 0
		.amdhsa_system_vgpr_workitem_id 0
		.amdhsa_next_free_vgpr 17
		.amdhsa_next_free_sgpr 18
		.amdhsa_reserve_vcc 1
		.amdhsa_float_round_mode_32 0
		.amdhsa_float_round_mode_16_64 0
		.amdhsa_float_denorm_mode_32 3
		.amdhsa_float_denorm_mode_16_64 3
		.amdhsa_dx10_clamp 1
		.amdhsa_ieee_mode 1
		.amdhsa_fp16_overflow 0
		.amdhsa_workgroup_processor_mode 1
		.amdhsa_memory_ordered 1
		.amdhsa_forward_progress 0
		.amdhsa_shared_vgpr_count 0
		.amdhsa_exception_fp_ieee_invalid_op 0
		.amdhsa_exception_fp_denorm_src 0
		.amdhsa_exception_fp_ieee_div_zero 0
		.amdhsa_exception_fp_ieee_overflow 0
		.amdhsa_exception_fp_ieee_underflow 0
		.amdhsa_exception_fp_ieee_inexact 0
		.amdhsa_exception_int_div_zero 0
	.end_amdhsa_kernel
	.section	.text._ZN9rocsparseL14nnz_kernel_colILi256EllfEEv16rocsparse_order_T1_S2_PKT2_lPT0_,"axG",@progbits,_ZN9rocsparseL14nnz_kernel_colILi256EllfEEv16rocsparse_order_T1_S2_PKT2_lPT0_,comdat
.Lfunc_end29:
	.size	_ZN9rocsparseL14nnz_kernel_colILi256EllfEEv16rocsparse_order_T1_S2_PKT2_lPT0_, .Lfunc_end29-_ZN9rocsparseL14nnz_kernel_colILi256EllfEEv16rocsparse_order_T1_S2_PKT2_lPT0_
                                        ; -- End function
	.section	.AMDGPU.csdata,"",@progbits
; Kernel info:
; codeLenInByte = 1884
; NumSgprs: 20
; NumVgprs: 17
; ScratchSize: 0
; MemoryBound: 0
; FloatMode: 240
; IeeeMode: 1
; LDSByteSize: 2048 bytes/workgroup (compile time only)
; SGPRBlocks: 2
; VGPRBlocks: 2
; NumSGPRsForWavesPerEU: 20
; NumVGPRsForWavesPerEU: 17
; Occupancy: 16
; WaveLimiterHint : 0
; COMPUTE_PGM_RSRC2:SCRATCH_EN: 0
; COMPUTE_PGM_RSRC2:USER_SGPR: 15
; COMPUTE_PGM_RSRC2:TRAP_HANDLER: 0
; COMPUTE_PGM_RSRC2:TGID_X_EN: 1
; COMPUTE_PGM_RSRC2:TGID_Y_EN: 0
; COMPUTE_PGM_RSRC2:TGID_Z_EN: 0
; COMPUTE_PGM_RSRC2:TIDIG_COMP_CNT: 0
	.section	.text._ZN9rocsparseL14nnz_kernel_rowILi64ELi16ElldEEv16rocsparse_order_T2_S2_PKT3_lPT1_,"axG",@progbits,_ZN9rocsparseL14nnz_kernel_rowILi64ELi16ElldEEv16rocsparse_order_T2_S2_PKT3_lPT1_,comdat
	.globl	_ZN9rocsparseL14nnz_kernel_rowILi64ELi16ElldEEv16rocsparse_order_T2_S2_PKT3_lPT1_ ; -- Begin function _ZN9rocsparseL14nnz_kernel_rowILi64ELi16ElldEEv16rocsparse_order_T2_S2_PKT3_lPT1_
	.p2align	8
	.type	_ZN9rocsparseL14nnz_kernel_rowILi64ELi16ElldEEv16rocsparse_order_T2_S2_PKT3_lPT1_,@function
_ZN9rocsparseL14nnz_kernel_rowILi64ELi16ElldEEv16rocsparse_order_T2_S2_PKT3_lPT1_: ; @_ZN9rocsparseL14nnz_kernel_rowILi64ELi16ElldEEv16rocsparse_order_T2_S2_PKT3_lPT1_
; %bb.0:
	s_clause 0x2
	s_load_b32 s2, s[0:1], 0x3c
	s_load_b256 s[16:23], s[0:1], 0x8
	s_load_b64 s[6:7], s[0:1], 0x28
	s_mov_b32 s8, 0
	s_lshl_b32 s5, s15, 8
	s_mov_b32 s9, s8
	s_mov_b32 s10, s8
	;; [unrolled: 1-line block ×7, first 2 shown]
	v_and_b32_e32 v1, 0x3ff, v0
	v_bfe_u32 v0, v0, 10, 10
	s_load_b32 s28, s[0:1], 0x0
	s_mov_b32 s29, exec_lo
	s_waitcnt lgkmcnt(0)
	s_and_b32 s0, s2, 0xffff
	s_delay_alu instid0(SALU_CYCLE_1) | instskip(SKIP_1) | instid1(SALU_CYCLE_1)
	v_mad_u32_u24 v30, v0, s0, v1
	s_ashr_i32 s0, s19, 31
	s_lshr_b32 s0, s0, 26
	s_delay_alu instid0(SALU_CYCLE_1) | instskip(NEXT) | instid1(VALU_DEP_1)
	s_add_u32 s0, s18, s0
	v_lshrrev_b32_e32 v0, 4, v30
	v_and_b32_e32 v31, 63, v30
	v_mov_b32_e32 v19, 0
	s_addc_u32 s27, s19, 0
	s_and_b32 s26, s0, 0xffffffc0
	v_and_b32_e32 v16, 0x7ffffc, v0
	v_mov_b32_e32 v0, s8
	v_or_b32_e32 v18, s5, v31
	v_dual_mov_b32 v17, v19 :: v_dual_mov_b32 v4, s12
	v_dual_mov_b32 v1, s9 :: v_dual_mov_b32 v6, s14
	;; [unrolled: 1-line block ×3, first 2 shown]
	v_mov_b32_e32 v5, s13
	v_mov_b32_e32 v7, s15
	v_or_b32_e32 v24, 64, v18
	v_or_b32_e32 v22, 0x80, v18
	;; [unrolled: 1-line block ×3, first 2 shown]
	s_sub_u32 s24, s18, s26
	s_subb_u32 s25, s19, s27
	v_cmpx_gt_i64_e64 s[26:27], v[16:17]
	s_cbranch_execz .LBB30_28
; %bb.1:
	v_add_co_u32 v0, s0, s5, v31
	s_delay_alu instid0(VALU_DEP_1) | instskip(SKIP_1) | instid1(VALU_DEP_3)
	v_add_co_ci_u32_e64 v1, null, 0, 0, s0
	v_lshrrev_b32_e32 v11, 6, v30
	v_mul_lo_u32 v4, s23, v0
	v_mad_u64_u32 v[2:3], null, s22, v0, 0
	s_delay_alu instid0(VALU_DEP_4) | instskip(SKIP_3) | instid1(VALU_DEP_3)
	v_mul_lo_u32 v5, s22, v1
	v_add_co_u32 v6, vcc_lo, v0, 64
	v_add_co_ci_u32_e32 v7, vcc_lo, 0, v1, vcc_lo
	v_mov_b32_e32 v21, v19
	v_mul_lo_u32 v8, s23, v6
	v_add_co_u32 v9, vcc_lo, 0x80, v0
	v_add3_u32 v3, v3, v5, v4
	v_mul_lo_u32 v7, s22, v7
	v_mad_u64_u32 v[4:5], null, s22, v6, 0
	v_lshlrev_b32_e32 v13, 5, v11
	s_delay_alu instid0(VALU_DEP_4)
	v_lshlrev_b64 v[2:3], 3, v[2:3]
	v_mov_b32_e32 v23, v19
	v_add_co_ci_u32_e32 v6, vcc_lo, 0, v1, vcc_lo
	v_cmp_gt_i64_e64 s3, s[16:17], v[20:21]
	v_add3_u32 v5, v5, v7, v8
	v_add_co_u32 v21, vcc_lo, v2, v13
	v_cmp_gt_i64_e64 s2, s[16:17], v[22:23]
	v_mul_lo_u32 v8, s23, v9
	v_mul_lo_u32 v10, s22, v6
	v_mad_u64_u32 v[6:7], null, s22, v9, 0
	v_add_co_ci_u32_e32 v23, vcc_lo, 0, v3, vcc_lo
	v_add_co_u32 v9, vcc_lo, 0xc0, v0
	v_lshlrev_b64 v[2:3], 3, v[4:5]
	v_add_co_ci_u32_e32 v4, vcc_lo, 0, v1, vcc_lo
	v_lshlrev_b64 v[0:1], 3, v[0:1]
	v_mov_b32_e32 v25, v19
	v_add3_u32 v7, v7, v10, v8
	v_mul_lo_u32 v10, s23, v9
	v_or_b32_e32 v12, 24, v13
	v_mul_lo_u32 v14, s22, v4
	v_mad_u64_u32 v[4:5], null, s22, v9, 0
	v_cmp_gt_i64_e64 s1, s[16:17], v[24:25]
	s_delay_alu instid0(VALU_DEP_4)
	v_mad_u64_u32 v[25:26], null, s22, v12, v[0:1]
	v_add_co_u32 v32, vcc_lo, v2, v13
	v_add_co_ci_u32_e32 v33, vcc_lo, 0, v3, vcc_lo
	v_add3_u32 v5, v5, v14, v10
	v_or_b32_e32 v14, 16, v13
	v_lshlrev_b64 v[2:3], 3, v[6:7]
	v_mov_b32_e32 v6, v26
	v_mad_u64_u32 v[8:9], null, s22, v11, 0
	s_delay_alu instid0(VALU_DEP_4) | instskip(NEXT) | instid1(VALU_DEP_4)
	v_mad_u64_u32 v[26:27], null, s22, v14, v[0:1]
	v_add_co_u32 v34, vcc_lo, v2, v13
	v_add_co_ci_u32_e32 v35, vcc_lo, 0, v3, vcc_lo
	v_lshlrev_b64 v[2:3], 3, v[4:5]
	s_delay_alu instid0(VALU_DEP_4) | instskip(SKIP_3) | instid1(VALU_DEP_3)
	v_dual_mov_b32 v7, v9 :: v_dual_mov_b32 v4, v27
	v_or_b32_e32 v15, 8, v13
	v_cmp_gt_i64_e64 s0, s[16:17], v[18:19]
	s_cmp_lg_u32 s28, 1
	v_mad_u64_u32 v[9:10], null, s23, v11, v[7:8]
	s_delay_alu instid0(VALU_DEP_3) | instskip(SKIP_2) | instid1(VALU_DEP_3)
	v_mad_u64_u32 v[28:29], null, s22, v15, v[0:1]
	v_mad_u64_u32 v[10:11], null, s23, v12, v[6:7]
	v_add_co_u32 v27, vcc_lo, v2, v13
	v_mov_b32_e32 v5, v29
	v_add_co_ci_u32_e32 v29, vcc_lo, 0, v3, vcc_lo
	s_delay_alu instid0(VALU_DEP_4) | instskip(NEXT) | instid1(VALU_DEP_3)
	v_mov_b32_e32 v36, v10
	v_mad_u64_u32 v[6:7], null, s23, v14, v[4:5]
	s_delay_alu instid0(VALU_DEP_1) | instskip(SKIP_2) | instid1(VALU_DEP_2)
	v_mad_u64_u32 v[11:12], null, s23, v15, v[5:6]
	v_lshlrev_b64 v[4:5], 5, v[8:9]
	v_mov_b32_e32 v37, v6
	v_add_co_u32 v39, vcc_lo, v4, v0
	s_delay_alu instid0(VALU_DEP_3)
	v_add_co_ci_u32_e32 v40, vcc_lo, v5, v1, vcc_lo
	v_mov_b32_e32 v0, s8
	v_mov_b32_e32 v4, s12
	v_dual_mov_b32 v38, v11 :: v_dual_mov_b32 v1, s9
	v_mov_b32_e32 v6, s14
	v_dual_mov_b32 v2, s10 :: v_dual_mov_b32 v3, s11
	v_mov_b32_e32 v5, s13
	v_mov_b32_e32 v7, s15
	s_cselect_b32 s9, -1, 0
	s_lshl_b64 s[10:11], s[22:23], 9
	s_branch .LBB30_4
.LBB30_2:                               ;   in Loop: Header=BB30_4 Depth=1
	s_delay_alu instid0(VALU_DEP_1) | instskip(NEXT) | instid1(VALU_DEP_3)
	v_dual_mov_b32 v0, v8 :: v_dual_mov_b32 v1, v9
	v_dual_mov_b32 v2, v10 :: v_dual_mov_b32 v3, v11
	;; [unrolled: 1-line block ×4, first 2 shown]
.LBB30_3:                               ;   in Loop: Header=BB30_4 Depth=1
	s_or_b32 exec_lo, exec_lo, s4
	v_add_co_u32 v16, vcc_lo, v16, 64
	v_add_co_ci_u32_e32 v17, vcc_lo, 0, v17, vcc_lo
	v_add_co_u32 v21, vcc_lo, 0x200, v21
	v_add_co_ci_u32_e32 v23, vcc_lo, 0, v23, vcc_lo
	;; [unrolled: 2-line block ×8, first 2 shown]
	v_cmp_le_i64_e32 vcc_lo, s[26:27], v[16:17]
	v_add_co_u32 v39, s4, v39, s10
	s_delay_alu instid0(VALU_DEP_1) | instskip(SKIP_1) | instid1(SALU_CYCLE_1)
	v_add_co_ci_u32_e64 v40, s4, s11, v40, s4
	s_or_b32 s8, vcc_lo, s8
	s_and_not1_b32 exec_lo, exec_lo, s8
	s_cbranch_execz .LBB30_27
.LBB30_4:                               ; =>This Inner Loop Header: Depth=1
	s_and_saveexec_b32 s4, s0
	s_cbranch_execnz .LBB30_8
; %bb.5:                                ;   in Loop: Header=BB30_4 Depth=1
	s_or_b32 exec_lo, exec_lo, s4
	s_and_saveexec_b32 s4, s1
	s_cbranch_execnz .LBB30_13
.LBB30_6:                               ;   in Loop: Header=BB30_4 Depth=1
	s_or_b32 exec_lo, exec_lo, s4
	s_and_saveexec_b32 s4, s2
	s_cbranch_execnz .LBB30_18
.LBB30_7:                               ;   in Loop: Header=BB30_4 Depth=1
	s_or_b32 exec_lo, exec_lo, s4
	s_and_saveexec_b32 s4, s3
	s_cbranch_execz .LBB30_3
	s_branch .LBB30_23
.LBB30_8:                               ;   in Loop: Header=BB30_4 Depth=1
	s_and_not1_b32 vcc_lo, exec_lo, s9
	s_cbranch_vccnz .LBB30_10
; %bb.9:                                ;   in Loop: Header=BB30_4 Depth=1
	v_add_co_u32 v12, vcc_lo, s20, v21
	v_add_co_ci_u32_e32 v13, vcc_lo, s21, v23, vcc_lo
	v_add_co_u32 v41, vcc_lo, v0, 1
	v_add_co_ci_u32_e32 v42, vcc_lo, 0, v1, vcc_lo
	s_clause 0x1
	global_load_b128 v[8:11], v[12:13], off
	global_load_b128 v[12:15], v[12:13], off offset:16
	s_waitcnt vmcnt(1)
	v_cmp_neq_f64_e32 vcc_lo, 0, v[8:9]
	v_dual_cndmask_b32 v8, v1, v42 :: v_dual_cndmask_b32 v9, v0, v41
	s_delay_alu instid0(VALU_DEP_1) | instskip(NEXT) | instid1(VALU_DEP_2)
	v_add_co_u32 v41, vcc_lo, v9, 1
	v_add_co_ci_u32_e32 v42, vcc_lo, 0, v8, vcc_lo
	v_cmp_neq_f64_e32 vcc_lo, 0, v[10:11]
	s_delay_alu instid0(VALU_DEP_2) | instskip(NEXT) | instid1(VALU_DEP_1)
	v_dual_cndmask_b32 v8, v8, v42 :: v_dual_cndmask_b32 v9, v9, v41
	v_add_co_u32 v10, vcc_lo, v9, 1
	s_delay_alu instid0(VALU_DEP_2) | instskip(SKIP_3) | instid1(VALU_DEP_3)
	v_add_co_ci_u32_e32 v11, vcc_lo, 0, v8, vcc_lo
	s_waitcnt vmcnt(0)
	v_cmp_neq_f64_e32 vcc_lo, 0, v[12:13]
	v_dual_mov_b32 v12, v4 :: v_dual_mov_b32 v13, v5
	v_dual_cndmask_b32 v8, v8, v11 :: v_dual_cndmask_b32 v41, v9, v10
	v_dual_mov_b32 v10, v2 :: v_dual_mov_b32 v11, v3
	s_delay_alu instid0(VALU_DEP_2) | instskip(NEXT) | instid1(VALU_DEP_3)
	v_add_co_u32 v42, vcc_lo, v41, 1
	v_add_co_ci_u32_e32 v9, vcc_lo, 0, v8, vcc_lo
	v_cmp_neq_f64_e32 vcc_lo, 0, v[14:15]
	v_dual_mov_b32 v14, v6 :: v_dual_mov_b32 v15, v7
	s_delay_alu instid0(VALU_DEP_3)
	v_dual_cndmask_b32 v9, v8, v9 :: v_dual_cndmask_b32 v8, v41, v42
	s_cbranch_execz .LBB30_11
	s_branch .LBB30_12
.LBB30_10:                              ;   in Loop: Header=BB30_4 Depth=1
                                        ; implicit-def: $vgpr8_vgpr9_vgpr10_vgpr11_vgpr12_vgpr13_vgpr14_vgpr15
.LBB30_11:                              ;   in Loop: Header=BB30_4 Depth=1
	v_add_co_u32 v8, vcc_lo, s20, v39
	v_add_co_ci_u32_e32 v9, vcc_lo, s21, v40, vcc_lo
	v_add_co_u32 v10, vcc_lo, s20, v28
	v_add_co_ci_u32_e32 v11, vcc_lo, s21, v38, vcc_lo
	global_load_b64 v[8:9], v[8:9], off
	v_add_co_u32 v12, vcc_lo, s20, v26
	global_load_b64 v[10:11], v[10:11], off
	v_add_co_ci_u32_e32 v13, vcc_lo, s21, v37, vcc_lo
	v_add_co_u32 v14, vcc_lo, s20, v25
	v_add_co_ci_u32_e32 v15, vcc_lo, s21, v36, vcc_lo
	global_load_b64 v[12:13], v[12:13], off
	v_add_co_u32 v41, vcc_lo, v0, 1
	global_load_b64 v[14:15], v[14:15], off
	v_add_co_ci_u32_e32 v42, vcc_lo, 0, v1, vcc_lo
	s_waitcnt vmcnt(3)
	v_cmp_neq_f64_e32 vcc_lo, 0, v[8:9]
	s_delay_alu instid0(VALU_DEP_2) | instskip(NEXT) | instid1(VALU_DEP_1)
	v_dual_cndmask_b32 v1, v1, v42 :: v_dual_cndmask_b32 v0, v0, v41
	v_add_co_u32 v8, vcc_lo, v0, 1
	s_delay_alu instid0(VALU_DEP_2) | instskip(SKIP_2) | instid1(VALU_DEP_2)
	v_add_co_ci_u32_e32 v9, vcc_lo, 0, v1, vcc_lo
	s_waitcnt vmcnt(2)
	v_cmp_neq_f64_e32 vcc_lo, 0, v[10:11]
	v_dual_cndmask_b32 v1, v1, v9 :: v_dual_cndmask_b32 v0, v0, v8
	s_delay_alu instid0(VALU_DEP_1) | instskip(NEXT) | instid1(VALU_DEP_2)
	v_add_co_u32 v8, vcc_lo, v0, 1
	v_add_co_ci_u32_e32 v9, vcc_lo, 0, v1, vcc_lo
	s_waitcnt vmcnt(1)
	v_cmp_neq_f64_e32 vcc_lo, 0, v[12:13]
	s_delay_alu instid0(VALU_DEP_2) | instskip(NEXT) | instid1(VALU_DEP_1)
	v_dual_cndmask_b32 v1, v1, v9 :: v_dual_cndmask_b32 v0, v0, v8
	v_add_co_u32 v8, vcc_lo, v0, 1
	s_delay_alu instid0(VALU_DEP_2) | instskip(SKIP_2) | instid1(VALU_DEP_2)
	v_add_co_ci_u32_e32 v9, vcc_lo, 0, v1, vcc_lo
	s_waitcnt vmcnt(0)
	v_cmp_neq_f64_e32 vcc_lo, 0, v[14:15]
	v_dual_cndmask_b32 v1, v1, v9 :: v_dual_cndmask_b32 v0, v0, v8
	v_dual_mov_b32 v15, v7 :: v_dual_mov_b32 v14, v6
	v_dual_mov_b32 v13, v5 :: v_dual_mov_b32 v12, v4
	;; [unrolled: 1-line block ×3, first 2 shown]
	s_delay_alu instid0(VALU_DEP_4)
	v_dual_mov_b32 v9, v1 :: v_dual_mov_b32 v8, v0
.LBB30_12:                              ;   in Loop: Header=BB30_4 Depth=1
	s_delay_alu instid0(VALU_DEP_1) | instskip(NEXT) | instid1(VALU_DEP_3)
	v_dual_mov_b32 v0, v8 :: v_dual_mov_b32 v1, v9
	v_dual_mov_b32 v2, v10 :: v_dual_mov_b32 v3, v11
	;; [unrolled: 1-line block ×4, first 2 shown]
	s_or_b32 exec_lo, exec_lo, s4
	s_and_saveexec_b32 s4, s1
	s_cbranch_execz .LBB30_6
.LBB30_13:                              ;   in Loop: Header=BB30_4 Depth=1
	s_and_not1_b32 vcc_lo, exec_lo, s9
	s_cbranch_vccnz .LBB30_15
; %bb.14:                               ;   in Loop: Header=BB30_4 Depth=1
	v_add_co_u32 v12, vcc_lo, s20, v32
	v_add_co_ci_u32_e32 v13, vcc_lo, s21, v33, vcc_lo
	v_add_co_u32 v41, vcc_lo, v2, 1
	v_add_co_ci_u32_e32 v42, vcc_lo, 0, v3, vcc_lo
	s_clause 0x1
	global_load_b128 v[8:11], v[12:13], off
	global_load_b128 v[12:15], v[12:13], off offset:16
	s_waitcnt vmcnt(1)
	v_cmp_neq_f64_e32 vcc_lo, 0, v[8:9]
	v_dual_cndmask_b32 v8, v3, v42 :: v_dual_cndmask_b32 v9, v2, v41
	s_delay_alu instid0(VALU_DEP_1) | instskip(NEXT) | instid1(VALU_DEP_2)
	v_add_co_u32 v41, vcc_lo, v9, 1
	v_add_co_ci_u32_e32 v42, vcc_lo, 0, v8, vcc_lo
	v_cmp_neq_f64_e32 vcc_lo, 0, v[10:11]
	s_delay_alu instid0(VALU_DEP_2) | instskip(NEXT) | instid1(VALU_DEP_1)
	v_dual_cndmask_b32 v8, v8, v42 :: v_dual_cndmask_b32 v9, v9, v41
	v_add_co_u32 v10, vcc_lo, v9, 1
	s_delay_alu instid0(VALU_DEP_2) | instskip(SKIP_3) | instid1(VALU_DEP_3)
	v_add_co_ci_u32_e32 v11, vcc_lo, 0, v8, vcc_lo
	s_waitcnt vmcnt(0)
	v_cmp_neq_f64_e32 vcc_lo, 0, v[12:13]
	v_dual_mov_b32 v12, v4 :: v_dual_mov_b32 v13, v5
	v_dual_cndmask_b32 v11, v8, v11 :: v_dual_cndmask_b32 v10, v9, v10
	v_dual_mov_b32 v8, v0 :: v_dual_mov_b32 v9, v1
	s_delay_alu instid0(VALU_DEP_2) | instskip(NEXT) | instid1(VALU_DEP_3)
	v_add_co_u32 v41, vcc_lo, v10, 1
	v_add_co_ci_u32_e32 v42, vcc_lo, 0, v11, vcc_lo
	v_cmp_neq_f64_e32 vcc_lo, 0, v[14:15]
	v_dual_mov_b32 v14, v6 :: v_dual_mov_b32 v15, v7
	s_delay_alu instid0(VALU_DEP_3)
	v_dual_cndmask_b32 v11, v11, v42 :: v_dual_cndmask_b32 v10, v10, v41
	s_cbranch_execz .LBB30_16
	s_branch .LBB30_17
.LBB30_15:                              ;   in Loop: Header=BB30_4 Depth=1
                                        ; implicit-def: $vgpr8_vgpr9_vgpr10_vgpr11_vgpr12_vgpr13_vgpr14_vgpr15
.LBB30_16:                              ;   in Loop: Header=BB30_4 Depth=1
	v_add_co_u32 v8, vcc_lo, s20, v39
	v_add_co_ci_u32_e32 v9, vcc_lo, s21, v40, vcc_lo
	v_add_co_u32 v10, vcc_lo, s20, v28
	v_add_co_ci_u32_e32 v11, vcc_lo, s21, v38, vcc_lo
	global_load_b64 v[8:9], v[8:9], off offset:512
	v_add_co_u32 v12, vcc_lo, s20, v26
	global_load_b64 v[10:11], v[10:11], off offset:512
	v_add_co_ci_u32_e32 v13, vcc_lo, s21, v37, vcc_lo
	v_add_co_u32 v14, vcc_lo, s20, v25
	v_add_co_ci_u32_e32 v15, vcc_lo, s21, v36, vcc_lo
	global_load_b64 v[12:13], v[12:13], off offset:512
	v_add_co_u32 v41, vcc_lo, v2, 1
	global_load_b64 v[14:15], v[14:15], off offset:512
	v_add_co_ci_u32_e32 v42, vcc_lo, 0, v3, vcc_lo
	s_waitcnt vmcnt(3)
	v_cmp_neq_f64_e32 vcc_lo, 0, v[8:9]
	s_delay_alu instid0(VALU_DEP_2) | instskip(NEXT) | instid1(VALU_DEP_1)
	v_dual_cndmask_b32 v3, v3, v42 :: v_dual_cndmask_b32 v2, v2, v41
	v_add_co_u32 v8, vcc_lo, v2, 1
	s_delay_alu instid0(VALU_DEP_2) | instskip(SKIP_2) | instid1(VALU_DEP_2)
	v_add_co_ci_u32_e32 v9, vcc_lo, 0, v3, vcc_lo
	s_waitcnt vmcnt(2)
	v_cmp_neq_f64_e32 vcc_lo, 0, v[10:11]
	v_dual_cndmask_b32 v3, v3, v9 :: v_dual_cndmask_b32 v2, v2, v8
	s_delay_alu instid0(VALU_DEP_1) | instskip(NEXT) | instid1(VALU_DEP_2)
	v_add_co_u32 v8, vcc_lo, v2, 1
	v_add_co_ci_u32_e32 v9, vcc_lo, 0, v3, vcc_lo
	s_waitcnt vmcnt(1)
	v_cmp_neq_f64_e32 vcc_lo, 0, v[12:13]
	s_delay_alu instid0(VALU_DEP_2) | instskip(NEXT) | instid1(VALU_DEP_1)
	v_dual_cndmask_b32 v3, v3, v9 :: v_dual_cndmask_b32 v2, v2, v8
	v_add_co_u32 v8, vcc_lo, v2, 1
	s_delay_alu instid0(VALU_DEP_2) | instskip(SKIP_2) | instid1(VALU_DEP_2)
	v_add_co_ci_u32_e32 v9, vcc_lo, 0, v3, vcc_lo
	s_waitcnt vmcnt(0)
	v_cmp_neq_f64_e32 vcc_lo, 0, v[14:15]
	v_dual_cndmask_b32 v3, v3, v9 :: v_dual_cndmask_b32 v2, v2, v8
	v_dual_mov_b32 v15, v7 :: v_dual_mov_b32 v14, v6
	v_dual_mov_b32 v13, v5 :: v_dual_mov_b32 v12, v4
	s_delay_alu instid0(VALU_DEP_3)
	v_dual_mov_b32 v11, v3 :: v_dual_mov_b32 v10, v2
	v_dual_mov_b32 v9, v1 :: v_dual_mov_b32 v8, v0
.LBB30_17:                              ;   in Loop: Header=BB30_4 Depth=1
	s_delay_alu instid0(VALU_DEP_1) | instskip(NEXT) | instid1(VALU_DEP_2)
	v_dual_mov_b32 v0, v8 :: v_dual_mov_b32 v1, v9
	v_dual_mov_b32 v2, v10 :: v_dual_mov_b32 v3, v11
	;; [unrolled: 1-line block ×4, first 2 shown]
	s_or_b32 exec_lo, exec_lo, s4
	s_and_saveexec_b32 s4, s2
	s_cbranch_execz .LBB30_7
.LBB30_18:                              ;   in Loop: Header=BB30_4 Depth=1
	s_and_not1_b32 vcc_lo, exec_lo, s9
	s_cbranch_vccnz .LBB30_20
; %bb.19:                               ;   in Loop: Header=BB30_4 Depth=1
	v_add_co_u32 v12, vcc_lo, s20, v34
	v_add_co_ci_u32_e32 v13, vcc_lo, s21, v35, vcc_lo
	v_add_co_u32 v41, vcc_lo, v4, 1
	v_add_co_ci_u32_e32 v42, vcc_lo, 0, v5, vcc_lo
	s_clause 0x1
	global_load_b128 v[8:11], v[12:13], off
	global_load_b128 v[12:15], v[12:13], off offset:16
	s_waitcnt vmcnt(1)
	v_cmp_neq_f64_e32 vcc_lo, 0, v[8:9]
	v_dual_cndmask_b32 v8, v5, v42 :: v_dual_cndmask_b32 v9, v4, v41
	s_delay_alu instid0(VALU_DEP_1) | instskip(NEXT) | instid1(VALU_DEP_2)
	v_add_co_u32 v41, vcc_lo, v9, 1
	v_add_co_ci_u32_e32 v42, vcc_lo, 0, v8, vcc_lo
	v_cmp_neq_f64_e32 vcc_lo, 0, v[10:11]
	s_delay_alu instid0(VALU_DEP_2) | instskip(NEXT) | instid1(VALU_DEP_1)
	v_dual_cndmask_b32 v8, v8, v42 :: v_dual_cndmask_b32 v9, v9, v41
	v_add_co_u32 v10, vcc_lo, v9, 1
	s_delay_alu instid0(VALU_DEP_2) | instskip(SKIP_2) | instid1(VALU_DEP_2)
	v_add_co_ci_u32_e32 v11, vcc_lo, 0, v8, vcc_lo
	s_waitcnt vmcnt(0)
	v_cmp_neq_f64_e32 vcc_lo, 0, v[12:13]
	v_dual_cndmask_b32 v12, v8, v11 :: v_dual_cndmask_b32 v41, v9, v10
	v_dual_mov_b32 v8, v0 :: v_dual_mov_b32 v9, v1
	v_dual_mov_b32 v10, v2 :: v_dual_mov_b32 v11, v3
	s_delay_alu instid0(VALU_DEP_3) | instskip(NEXT) | instid1(VALU_DEP_4)
	v_add_co_u32 v42, vcc_lo, v41, 1
	v_add_co_ci_u32_e32 v13, vcc_lo, 0, v12, vcc_lo
	v_cmp_neq_f64_e32 vcc_lo, 0, v[14:15]
	v_dual_mov_b32 v14, v6 :: v_dual_mov_b32 v15, v7
	s_delay_alu instid0(VALU_DEP_3)
	v_dual_cndmask_b32 v13, v12, v13 :: v_dual_cndmask_b32 v12, v41, v42
	s_cbranch_execz .LBB30_21
	s_branch .LBB30_22
.LBB30_20:                              ;   in Loop: Header=BB30_4 Depth=1
                                        ; implicit-def: $vgpr8_vgpr9_vgpr10_vgpr11_vgpr12_vgpr13_vgpr14_vgpr15
.LBB30_21:                              ;   in Loop: Header=BB30_4 Depth=1
	v_add_co_u32 v8, vcc_lo, s20, v39
	v_add_co_ci_u32_e32 v9, vcc_lo, s21, v40, vcc_lo
	v_add_co_u32 v10, vcc_lo, s20, v28
	v_add_co_ci_u32_e32 v11, vcc_lo, s21, v38, vcc_lo
	global_load_b64 v[8:9], v[8:9], off offset:1024
	v_add_co_u32 v12, vcc_lo, s20, v26
	global_load_b64 v[10:11], v[10:11], off offset:1024
	v_add_co_ci_u32_e32 v13, vcc_lo, s21, v37, vcc_lo
	v_add_co_u32 v14, vcc_lo, s20, v25
	v_add_co_ci_u32_e32 v15, vcc_lo, s21, v36, vcc_lo
	global_load_b64 v[12:13], v[12:13], off offset:1024
	v_add_co_u32 v41, vcc_lo, v4, 1
	global_load_b64 v[14:15], v[14:15], off offset:1024
	v_add_co_ci_u32_e32 v42, vcc_lo, 0, v5, vcc_lo
	s_waitcnt vmcnt(3)
	v_cmp_neq_f64_e32 vcc_lo, 0, v[8:9]
	s_delay_alu instid0(VALU_DEP_2) | instskip(NEXT) | instid1(VALU_DEP_1)
	v_dual_cndmask_b32 v5, v5, v42 :: v_dual_cndmask_b32 v4, v4, v41
	v_add_co_u32 v8, vcc_lo, v4, 1
	s_delay_alu instid0(VALU_DEP_2) | instskip(SKIP_2) | instid1(VALU_DEP_2)
	v_add_co_ci_u32_e32 v9, vcc_lo, 0, v5, vcc_lo
	s_waitcnt vmcnt(2)
	v_cmp_neq_f64_e32 vcc_lo, 0, v[10:11]
	v_dual_cndmask_b32 v5, v5, v9 :: v_dual_cndmask_b32 v4, v4, v8
	s_delay_alu instid0(VALU_DEP_1) | instskip(NEXT) | instid1(VALU_DEP_2)
	v_add_co_u32 v8, vcc_lo, v4, 1
	v_add_co_ci_u32_e32 v9, vcc_lo, 0, v5, vcc_lo
	s_waitcnt vmcnt(1)
	v_cmp_neq_f64_e32 vcc_lo, 0, v[12:13]
	s_delay_alu instid0(VALU_DEP_2) | instskip(NEXT) | instid1(VALU_DEP_1)
	v_dual_cndmask_b32 v5, v5, v9 :: v_dual_cndmask_b32 v4, v4, v8
	v_add_co_u32 v8, vcc_lo, v4, 1
	s_delay_alu instid0(VALU_DEP_2) | instskip(SKIP_2) | instid1(VALU_DEP_2)
	v_add_co_ci_u32_e32 v9, vcc_lo, 0, v5, vcc_lo
	s_waitcnt vmcnt(0)
	v_cmp_neq_f64_e32 vcc_lo, 0, v[14:15]
	v_dual_cndmask_b32 v5, v5, v9 :: v_dual_cndmask_b32 v4, v4, v8
	v_dual_mov_b32 v15, v7 :: v_dual_mov_b32 v14, v6
	v_dual_mov_b32 v11, v3 :: v_dual_mov_b32 v10, v2
	s_delay_alu instid0(VALU_DEP_3)
	v_dual_mov_b32 v13, v5 :: v_dual_mov_b32 v12, v4
	v_dual_mov_b32 v9, v1 :: v_dual_mov_b32 v8, v0
.LBB30_22:                              ;   in Loop: Header=BB30_4 Depth=1
	s_delay_alu instid0(VALU_DEP_1) | instskip(NEXT) | instid1(VALU_DEP_4)
	v_dual_mov_b32 v0, v8 :: v_dual_mov_b32 v1, v9
	v_dual_mov_b32 v2, v10 :: v_dual_mov_b32 v3, v11
	s_delay_alu instid0(VALU_DEP_3)
	v_dual_mov_b32 v4, v12 :: v_dual_mov_b32 v5, v13
	v_dual_mov_b32 v6, v14 :: v_dual_mov_b32 v7, v15
	s_or_b32 exec_lo, exec_lo, s4
	s_and_saveexec_b32 s4, s3
	s_cbranch_execz .LBB30_3
.LBB30_23:                              ;   in Loop: Header=BB30_4 Depth=1
	s_and_not1_b32 vcc_lo, exec_lo, s9
	s_cbranch_vccnz .LBB30_25
; %bb.24:                               ;   in Loop: Header=BB30_4 Depth=1
	v_add_co_u32 v12, vcc_lo, s20, v27
	v_add_co_ci_u32_e32 v13, vcc_lo, s21, v29, vcc_lo
	v_add_co_u32 v41, vcc_lo, v6, 1
	v_add_co_ci_u32_e32 v42, vcc_lo, 0, v7, vcc_lo
	s_clause 0x1
	global_load_b128 v[8:11], v[12:13], off
	global_load_b128 v[12:15], v[12:13], off offset:16
	s_waitcnt vmcnt(1)
	v_cmp_neq_f64_e32 vcc_lo, 0, v[8:9]
	v_dual_cndmask_b32 v8, v7, v42 :: v_dual_cndmask_b32 v9, v6, v41
	s_delay_alu instid0(VALU_DEP_1) | instskip(NEXT) | instid1(VALU_DEP_2)
	v_add_co_u32 v41, vcc_lo, v9, 1
	v_add_co_ci_u32_e32 v42, vcc_lo, 0, v8, vcc_lo
	v_cmp_neq_f64_e32 vcc_lo, 0, v[10:11]
	s_delay_alu instid0(VALU_DEP_2) | instskip(NEXT) | instid1(VALU_DEP_1)
	v_dual_cndmask_b32 v8, v8, v42 :: v_dual_cndmask_b32 v9, v9, v41
	v_add_co_u32 v10, vcc_lo, v9, 1
	s_delay_alu instid0(VALU_DEP_2) | instskip(SKIP_2) | instid1(VALU_DEP_3)
	v_add_co_ci_u32_e32 v11, vcc_lo, 0, v8, vcc_lo
	s_waitcnt vmcnt(0)
	v_cmp_neq_f64_e32 vcc_lo, 0, v[12:13]
	v_dual_mov_b32 v12, v4 :: v_dual_cndmask_b32 v41, v9, v10
	s_delay_alu instid0(VALU_DEP_3) | instskip(SKIP_1) | instid1(VALU_DEP_3)
	v_dual_cndmask_b32 v13, v8, v11 :: v_dual_mov_b32 v10, v2
	v_dual_mov_b32 v8, v0 :: v_dual_mov_b32 v9, v1
	v_add_co_u32 v42, vcc_lo, v41, 1
	s_delay_alu instid0(VALU_DEP_3) | instskip(SKIP_1) | instid1(VALU_DEP_3)
	v_add_co_ci_u32_e32 v43, vcc_lo, 0, v13, vcc_lo
	v_cmp_neq_f64_e32 vcc_lo, 0, v[14:15]
	v_dual_mov_b32 v11, v3 :: v_dual_cndmask_b32 v14, v41, v42
	s_delay_alu instid0(VALU_DEP_3)
	v_cndmask_b32_e32 v15, v13, v43, vcc_lo
	v_mov_b32_e32 v13, v5
	s_cbranch_execnz .LBB30_2
	s_branch .LBB30_26
.LBB30_25:                              ;   in Loop: Header=BB30_4 Depth=1
                                        ; implicit-def: $vgpr8_vgpr9_vgpr10_vgpr11_vgpr12_vgpr13_vgpr14_vgpr15
.LBB30_26:                              ;   in Loop: Header=BB30_4 Depth=1
	v_add_co_u32 v8, vcc_lo, s20, v39
	v_add_co_ci_u32_e32 v9, vcc_lo, s21, v40, vcc_lo
	v_add_co_u32 v10, vcc_lo, s20, v28
	v_add_co_ci_u32_e32 v11, vcc_lo, s21, v38, vcc_lo
	global_load_b64 v[8:9], v[8:9], off offset:1536
	v_add_co_u32 v12, vcc_lo, s20, v26
	global_load_b64 v[10:11], v[10:11], off offset:1536
	v_add_co_ci_u32_e32 v13, vcc_lo, s21, v37, vcc_lo
	v_add_co_u32 v14, vcc_lo, s20, v25
	v_add_co_ci_u32_e32 v15, vcc_lo, s21, v36, vcc_lo
	global_load_b64 v[12:13], v[12:13], off offset:1536
	v_add_co_u32 v41, vcc_lo, v6, 1
	global_load_b64 v[14:15], v[14:15], off offset:1536
	v_add_co_ci_u32_e32 v42, vcc_lo, 0, v7, vcc_lo
	s_waitcnt vmcnt(3)
	v_cmp_neq_f64_e32 vcc_lo, 0, v[8:9]
	s_delay_alu instid0(VALU_DEP_2) | instskip(NEXT) | instid1(VALU_DEP_1)
	v_dual_cndmask_b32 v7, v7, v42 :: v_dual_cndmask_b32 v6, v6, v41
	v_add_co_u32 v8, vcc_lo, v6, 1
	s_delay_alu instid0(VALU_DEP_2) | instskip(SKIP_2) | instid1(VALU_DEP_2)
	v_add_co_ci_u32_e32 v9, vcc_lo, 0, v7, vcc_lo
	s_waitcnt vmcnt(2)
	v_cmp_neq_f64_e32 vcc_lo, 0, v[10:11]
	v_dual_cndmask_b32 v7, v7, v9 :: v_dual_cndmask_b32 v6, v6, v8
	s_delay_alu instid0(VALU_DEP_1) | instskip(NEXT) | instid1(VALU_DEP_2)
	v_add_co_u32 v8, vcc_lo, v6, 1
	v_add_co_ci_u32_e32 v9, vcc_lo, 0, v7, vcc_lo
	s_waitcnt vmcnt(1)
	v_cmp_neq_f64_e32 vcc_lo, 0, v[12:13]
	s_delay_alu instid0(VALU_DEP_2) | instskip(NEXT) | instid1(VALU_DEP_1)
	v_dual_cndmask_b32 v7, v7, v9 :: v_dual_cndmask_b32 v6, v6, v8
	v_add_co_u32 v8, vcc_lo, v6, 1
	s_delay_alu instid0(VALU_DEP_2) | instskip(SKIP_2) | instid1(VALU_DEP_2)
	v_add_co_ci_u32_e32 v9, vcc_lo, 0, v7, vcc_lo
	s_waitcnt vmcnt(0)
	v_cmp_neq_f64_e32 vcc_lo, 0, v[14:15]
	v_dual_cndmask_b32 v7, v7, v9 :: v_dual_cndmask_b32 v6, v6, v8
	s_delay_alu instid0(VALU_DEP_1)
	v_dual_mov_b32 v15, v7 :: v_dual_mov_b32 v14, v6
	v_dual_mov_b32 v13, v5 :: v_dual_mov_b32 v12, v4
	;; [unrolled: 1-line block ×4, first 2 shown]
	s_branch .LBB30_2
.LBB30_27:
	s_or_b32 exec_lo, exec_lo, s8
.LBB30_28:
	s_delay_alu instid0(SALU_CYCLE_1) | instskip(SKIP_1) | instid1(VALU_DEP_1)
	s_or_b32 exec_lo, exec_lo, s29
	v_cmp_lt_i64_e64 s0, s[24:25], 1
	s_and_b32 vcc_lo, exec_lo, s0
	s_cbranch_vccnz .LBB30_126
; %bb.29:
	v_lshlrev_b64 v[8:9], 3, v[16:17]
	s_cmp_eq_u32 s28, 1
	s_mov_b32 s3, exec_lo
	s_cselect_b32 s2, -1, 0
	s_cmp_lg_u32 s28, 1
	s_cselect_b32 s1, -1, 0
	v_add_co_u32 v26, s0, s20, v8
	s_delay_alu instid0(VALU_DEP_1)
	v_add_co_ci_u32_e64 v27, s0, s21, v9, s0
	v_lshlrev_b64 v[8:9], 3, v[18:19]
	v_cmpx_gt_i64_e64 s[16:17], v[18:19]
	s_cbranch_execz .LBB30_53
; %bb.30:
	v_mad_u64_u32 v[10:11], null, v18, s22, 0
	s_delay_alu instid0(VALU_DEP_1) | instskip(NEXT) | instid1(VALU_DEP_1)
	v_mad_u64_u32 v[12:13], null, v18, s23, v[11:12]
	v_mov_b32_e32 v11, v12
	s_delay_alu instid0(VALU_DEP_1) | instskip(NEXT) | instid1(VALU_DEP_1)
	v_lshlrev_b64 v[10:11], 3, v[10:11]
	v_add_co_u32 v10, s0, v26, v10
	s_delay_alu instid0(VALU_DEP_1) | instskip(SKIP_1) | instid1(VALU_DEP_1)
	v_add_co_ci_u32_e64 v11, s0, v27, v11, s0
	v_add_co_u32 v18, s0, s20, v8
	v_add_co_ci_u32_e64 v21, s0, s21, v9, s0
	s_mov_b32 s0, exec_lo
	v_cmpx_gt_i64_e64 s[18:19], v[16:17]
	s_cbranch_execz .LBB30_34
; %bb.31:
	v_dual_mov_b32 v13, v11 :: v_dual_mov_b32 v12, v10
	s_and_not1_b32 vcc_lo, exec_lo, s2
	s_cbranch_vccnz .LBB30_33
; %bb.32:
	v_mul_lo_u32 v14, v17, s22
	v_mul_lo_u32 v15, v16, s23
	v_mad_u64_u32 v[12:13], null, v16, s22, 0
	s_delay_alu instid0(VALU_DEP_1) | instskip(NEXT) | instid1(VALU_DEP_1)
	v_add3_u32 v13, v13, v15, v14
	v_lshlrev_b64 v[12:13], 3, v[12:13]
	s_delay_alu instid0(VALU_DEP_1) | instskip(NEXT) | instid1(VALU_DEP_2)
	v_add_co_u32 v12, vcc_lo, v18, v12
	v_add_co_ci_u32_e32 v13, vcc_lo, v21, v13, vcc_lo
.LBB30_33:
	global_load_b64 v[12:13], v[12:13], off
	s_waitcnt vmcnt(0)
	v_cmp_neq_f64_e32 vcc_lo, 0, v[12:13]
	v_cndmask_b32_e64 v12, 0, 1, vcc_lo
	s_delay_alu instid0(VALU_DEP_1)
	v_add_co_u32 v0, vcc_lo, v0, v12
	v_add_co_ci_u32_e32 v1, vcc_lo, 0, v1, vcc_lo
.LBB30_34:
	s_or_b32 exec_lo, exec_lo, s0
	v_or_b32_e32 v12, 1, v16
	v_mov_b32_e32 v13, v17
	s_mov_b32 s0, exec_lo
	s_delay_alu instid0(VALU_DEP_1)
	v_cmpx_gt_i64_e64 s[18:19], v[12:13]
	s_cbranch_execz .LBB30_40
; %bb.35:
	s_and_not1_b32 vcc_lo, exec_lo, s1
	s_cbranch_vccnz .LBB30_37
; %bb.36:
	v_add_co_u32 v14, vcc_lo, v10, 8
	v_add_co_ci_u32_e32 v15, vcc_lo, 0, v11, vcc_lo
	s_cbranch_execz .LBB30_38
	s_branch .LBB30_39
.LBB30_37:
                                        ; implicit-def: $vgpr14_vgpr15
.LBB30_38:
	v_mul_lo_u32 v15, v13, s22
	v_mul_lo_u32 v23, v12, s23
	v_mad_u64_u32 v[13:14], null, v12, s22, 0
	s_delay_alu instid0(VALU_DEP_1) | instskip(NEXT) | instid1(VALU_DEP_1)
	v_add3_u32 v14, v14, v23, v15
	v_lshlrev_b64 v[12:13], 3, v[13:14]
	s_delay_alu instid0(VALU_DEP_1) | instskip(NEXT) | instid1(VALU_DEP_2)
	v_add_co_u32 v14, vcc_lo, v18, v12
	v_add_co_ci_u32_e32 v15, vcc_lo, v21, v13, vcc_lo
.LBB30_39:
	global_load_b64 v[12:13], v[14:15], off
	s_waitcnt vmcnt(0)
	v_cmp_neq_f64_e32 vcc_lo, 0, v[12:13]
	v_cndmask_b32_e64 v12, 0, 1, vcc_lo
	s_delay_alu instid0(VALU_DEP_1)
	v_add_co_u32 v0, vcc_lo, v0, v12
	v_add_co_ci_u32_e32 v1, vcc_lo, 0, v1, vcc_lo
.LBB30_40:
	s_or_b32 exec_lo, exec_lo, s0
	v_or_b32_e32 v12, 2, v16
	v_mov_b32_e32 v13, v17
	s_mov_b32 s0, exec_lo
	s_delay_alu instid0(VALU_DEP_1)
	v_cmpx_gt_i64_e64 s[18:19], v[12:13]
	s_cbranch_execz .LBB30_46
; %bb.41:
	s_and_not1_b32 vcc_lo, exec_lo, s1
	s_cbranch_vccnz .LBB30_43
; %bb.42:
	v_add_co_u32 v14, vcc_lo, v10, 16
	v_add_co_ci_u32_e32 v15, vcc_lo, 0, v11, vcc_lo
	s_cbranch_execz .LBB30_44
	s_branch .LBB30_45
.LBB30_43:
                                        ; implicit-def: $vgpr14_vgpr15
.LBB30_44:
	v_mul_lo_u32 v15, v13, s22
	v_mul_lo_u32 v23, v12, s23
	v_mad_u64_u32 v[13:14], null, v12, s22, 0
	s_delay_alu instid0(VALU_DEP_1) | instskip(NEXT) | instid1(VALU_DEP_1)
	v_add3_u32 v14, v14, v23, v15
	v_lshlrev_b64 v[12:13], 3, v[13:14]
	s_delay_alu instid0(VALU_DEP_1) | instskip(NEXT) | instid1(VALU_DEP_2)
	v_add_co_u32 v14, vcc_lo, v18, v12
	v_add_co_ci_u32_e32 v15, vcc_lo, v21, v13, vcc_lo
.LBB30_45:
	global_load_b64 v[12:13], v[14:15], off
	s_waitcnt vmcnt(0)
	v_cmp_neq_f64_e32 vcc_lo, 0, v[12:13]
	v_cndmask_b32_e64 v12, 0, 1, vcc_lo
	s_delay_alu instid0(VALU_DEP_1)
	v_add_co_u32 v0, vcc_lo, v0, v12
	v_add_co_ci_u32_e32 v1, vcc_lo, 0, v1, vcc_lo
.LBB30_46:
	s_or_b32 exec_lo, exec_lo, s0
	v_or_b32_e32 v12, 3, v16
	v_mov_b32_e32 v13, v17
	s_mov_b32 s0, exec_lo
	s_delay_alu instid0(VALU_DEP_1)
	v_cmpx_gt_i64_e64 s[18:19], v[12:13]
	s_cbranch_execz .LBB30_52
; %bb.47:
	s_and_not1_b32 vcc_lo, exec_lo, s1
	s_cbranch_vccnz .LBB30_49
; %bb.48:
	v_add_co_u32 v10, vcc_lo, v10, 24
	v_add_co_ci_u32_e32 v11, vcc_lo, 0, v11, vcc_lo
	s_cbranch_execz .LBB30_50
	s_branch .LBB30_51
.LBB30_49:
                                        ; implicit-def: $vgpr10_vgpr11
.LBB30_50:
	v_mul_lo_u32 v13, v13, s22
	v_mul_lo_u32 v14, v12, s23
	v_mad_u64_u32 v[10:11], null, v12, s22, 0
	s_delay_alu instid0(VALU_DEP_1) | instskip(NEXT) | instid1(VALU_DEP_1)
	v_add3_u32 v11, v11, v14, v13
	v_lshlrev_b64 v[10:11], 3, v[10:11]
	s_delay_alu instid0(VALU_DEP_1) | instskip(NEXT) | instid1(VALU_DEP_2)
	v_add_co_u32 v10, vcc_lo, v18, v10
	v_add_co_ci_u32_e32 v11, vcc_lo, v21, v11, vcc_lo
.LBB30_51:
	global_load_b64 v[10:11], v[10:11], off
	s_waitcnt vmcnt(0)
	v_cmp_neq_f64_e32 vcc_lo, 0, v[10:11]
	v_cndmask_b32_e64 v10, 0, 1, vcc_lo
	s_delay_alu instid0(VALU_DEP_1)
	v_add_co_u32 v0, vcc_lo, v0, v10
	v_add_co_ci_u32_e32 v1, vcc_lo, 0, v1, vcc_lo
.LBB30_52:
	s_or_b32 exec_lo, exec_lo, s0
.LBB30_53:
	s_delay_alu instid0(SALU_CYCLE_1) | instskip(SKIP_2) | instid1(VALU_DEP_1)
	s_or_b32 exec_lo, exec_lo, s3
	v_mov_b32_e32 v25, v19
	s_mov_b32 s3, exec_lo
	v_cmpx_gt_i64_e64 s[16:17], v[24:25]
	s_cbranch_execz .LBB30_77
; %bb.54:
	v_mad_u64_u32 v[10:11], null, v24, s22, 0
	s_delay_alu instid0(VALU_DEP_1) | instskip(NEXT) | instid1(VALU_DEP_1)
	v_mad_u64_u32 v[12:13], null, v24, s23, v[11:12]
	v_mov_b32_e32 v11, v12
	s_delay_alu instid0(VALU_DEP_1) | instskip(NEXT) | instid1(VALU_DEP_1)
	v_lshlrev_b64 v[10:11], 3, v[10:11]
	v_add_co_u32 v10, s0, v26, v10
	s_delay_alu instid0(VALU_DEP_1) | instskip(SKIP_1) | instid1(VALU_DEP_1)
	v_add_co_ci_u32_e64 v11, s0, v27, v11, s0
	v_add_co_u32 v18, s0, s20, v8
	v_add_co_ci_u32_e64 v21, s0, s21, v9, s0
	s_mov_b32 s0, exec_lo
	v_cmpx_gt_i64_e64 s[18:19], v[16:17]
	s_cbranch_execz .LBB30_58
; %bb.55:
	v_dual_mov_b32 v13, v11 :: v_dual_mov_b32 v12, v10
	s_and_not1_b32 vcc_lo, exec_lo, s2
	s_cbranch_vccnz .LBB30_57
; %bb.56:
	v_mul_lo_u32 v14, v17, s22
	v_mul_lo_u32 v15, v16, s23
	v_mad_u64_u32 v[12:13], null, v16, s22, 0
	s_delay_alu instid0(VALU_DEP_1) | instskip(NEXT) | instid1(VALU_DEP_1)
	v_add3_u32 v13, v13, v15, v14
	v_lshlrev_b64 v[12:13], 3, v[12:13]
	s_delay_alu instid0(VALU_DEP_1) | instskip(NEXT) | instid1(VALU_DEP_2)
	v_add_co_u32 v12, vcc_lo, v18, v12
	v_add_co_ci_u32_e32 v13, vcc_lo, v21, v13, vcc_lo
	s_delay_alu instid0(VALU_DEP_2) | instskip(NEXT) | instid1(VALU_DEP_2)
	v_add_co_u32 v12, vcc_lo, 0x200, v12
	v_add_co_ci_u32_e32 v13, vcc_lo, 0, v13, vcc_lo
.LBB30_57:
	global_load_b64 v[12:13], v[12:13], off
	s_waitcnt vmcnt(0)
	v_cmp_neq_f64_e32 vcc_lo, 0, v[12:13]
	v_cndmask_b32_e64 v12, 0, 1, vcc_lo
	s_delay_alu instid0(VALU_DEP_1)
	v_add_co_u32 v2, vcc_lo, v2, v12
	v_add_co_ci_u32_e32 v3, vcc_lo, 0, v3, vcc_lo
.LBB30_58:
	s_or_b32 exec_lo, exec_lo, s0
	v_or_b32_e32 v12, 1, v16
	v_mov_b32_e32 v13, v17
	s_mov_b32 s0, exec_lo
	s_delay_alu instid0(VALU_DEP_1)
	v_cmpx_gt_i64_e64 s[18:19], v[12:13]
	s_cbranch_execz .LBB30_64
; %bb.59:
	s_and_not1_b32 vcc_lo, exec_lo, s1
	s_cbranch_vccnz .LBB30_61
; %bb.60:
	v_add_co_u32 v14, vcc_lo, v10, 8
	v_add_co_ci_u32_e32 v15, vcc_lo, 0, v11, vcc_lo
	s_cbranch_execz .LBB30_62
	s_branch .LBB30_63
.LBB30_61:
                                        ; implicit-def: $vgpr14_vgpr15
.LBB30_62:
	v_mul_lo_u32 v15, v13, s22
	v_mul_lo_u32 v23, v12, s23
	v_mad_u64_u32 v[13:14], null, v12, s22, 0
	s_delay_alu instid0(VALU_DEP_1) | instskip(NEXT) | instid1(VALU_DEP_1)
	v_add3_u32 v14, v14, v23, v15
	v_lshlrev_b64 v[12:13], 3, v[13:14]
	s_delay_alu instid0(VALU_DEP_1) | instskip(NEXT) | instid1(VALU_DEP_2)
	v_add_co_u32 v12, vcc_lo, v18, v12
	v_add_co_ci_u32_e32 v13, vcc_lo, v21, v13, vcc_lo
	s_delay_alu instid0(VALU_DEP_2) | instskip(NEXT) | instid1(VALU_DEP_2)
	v_add_co_u32 v14, vcc_lo, 0x200, v12
	v_add_co_ci_u32_e32 v15, vcc_lo, 0, v13, vcc_lo
.LBB30_63:
	global_load_b64 v[12:13], v[14:15], off
	s_waitcnt vmcnt(0)
	v_cmp_neq_f64_e32 vcc_lo, 0, v[12:13]
	v_cndmask_b32_e64 v12, 0, 1, vcc_lo
	s_delay_alu instid0(VALU_DEP_1)
	v_add_co_u32 v2, vcc_lo, v2, v12
	v_add_co_ci_u32_e32 v3, vcc_lo, 0, v3, vcc_lo
.LBB30_64:
	s_or_b32 exec_lo, exec_lo, s0
	v_or_b32_e32 v12, 2, v16
	v_mov_b32_e32 v13, v17
	s_mov_b32 s0, exec_lo
	s_delay_alu instid0(VALU_DEP_1)
	v_cmpx_gt_i64_e64 s[18:19], v[12:13]
	s_cbranch_execz .LBB30_70
; %bb.65:
	s_and_not1_b32 vcc_lo, exec_lo, s1
	s_cbranch_vccnz .LBB30_67
; %bb.66:
	v_add_co_u32 v14, vcc_lo, v10, 16
	v_add_co_ci_u32_e32 v15, vcc_lo, 0, v11, vcc_lo
	s_cbranch_execz .LBB30_68
	s_branch .LBB30_69
.LBB30_67:
                                        ; implicit-def: $vgpr14_vgpr15
.LBB30_68:
	v_mul_lo_u32 v15, v13, s22
	v_mul_lo_u32 v23, v12, s23
	v_mad_u64_u32 v[13:14], null, v12, s22, 0
	s_delay_alu instid0(VALU_DEP_1) | instskip(NEXT) | instid1(VALU_DEP_1)
	v_add3_u32 v14, v14, v23, v15
	v_lshlrev_b64 v[12:13], 3, v[13:14]
	s_delay_alu instid0(VALU_DEP_1) | instskip(NEXT) | instid1(VALU_DEP_2)
	v_add_co_u32 v12, vcc_lo, v18, v12
	v_add_co_ci_u32_e32 v13, vcc_lo, v21, v13, vcc_lo
	s_delay_alu instid0(VALU_DEP_2) | instskip(NEXT) | instid1(VALU_DEP_2)
	v_add_co_u32 v14, vcc_lo, 0x200, v12
	v_add_co_ci_u32_e32 v15, vcc_lo, 0, v13, vcc_lo
.LBB30_69:
	global_load_b64 v[12:13], v[14:15], off
	s_waitcnt vmcnt(0)
	v_cmp_neq_f64_e32 vcc_lo, 0, v[12:13]
	v_cndmask_b32_e64 v12, 0, 1, vcc_lo
	s_delay_alu instid0(VALU_DEP_1)
	v_add_co_u32 v2, vcc_lo, v2, v12
	v_add_co_ci_u32_e32 v3, vcc_lo, 0, v3, vcc_lo
.LBB30_70:
	s_or_b32 exec_lo, exec_lo, s0
	v_or_b32_e32 v12, 3, v16
	v_mov_b32_e32 v13, v17
	s_mov_b32 s0, exec_lo
	s_delay_alu instid0(VALU_DEP_1)
	v_cmpx_gt_i64_e64 s[18:19], v[12:13]
	s_cbranch_execz .LBB30_76
; %bb.71:
	s_and_not1_b32 vcc_lo, exec_lo, s1
	s_cbranch_vccnz .LBB30_73
; %bb.72:
	v_add_co_u32 v10, vcc_lo, v10, 24
	v_add_co_ci_u32_e32 v11, vcc_lo, 0, v11, vcc_lo
	s_cbranch_execz .LBB30_74
	s_branch .LBB30_75
.LBB30_73:
                                        ; implicit-def: $vgpr10_vgpr11
.LBB30_74:
	v_mul_lo_u32 v13, v13, s22
	v_mul_lo_u32 v14, v12, s23
	v_mad_u64_u32 v[10:11], null, v12, s22, 0
	s_delay_alu instid0(VALU_DEP_1) | instskip(NEXT) | instid1(VALU_DEP_1)
	v_add3_u32 v11, v11, v14, v13
	v_lshlrev_b64 v[10:11], 3, v[10:11]
	s_delay_alu instid0(VALU_DEP_1) | instskip(NEXT) | instid1(VALU_DEP_2)
	v_add_co_u32 v10, vcc_lo, v18, v10
	v_add_co_ci_u32_e32 v11, vcc_lo, v21, v11, vcc_lo
	s_delay_alu instid0(VALU_DEP_2) | instskip(NEXT) | instid1(VALU_DEP_2)
	v_add_co_u32 v10, vcc_lo, 0x200, v10
	v_add_co_ci_u32_e32 v11, vcc_lo, 0, v11, vcc_lo
.LBB30_75:
	global_load_b64 v[10:11], v[10:11], off
	s_waitcnt vmcnt(0)
	v_cmp_neq_f64_e32 vcc_lo, 0, v[10:11]
	v_cndmask_b32_e64 v10, 0, 1, vcc_lo
	s_delay_alu instid0(VALU_DEP_1)
	v_add_co_u32 v2, vcc_lo, v2, v10
	v_add_co_ci_u32_e32 v3, vcc_lo, 0, v3, vcc_lo
.LBB30_76:
	s_or_b32 exec_lo, exec_lo, s0
.LBB30_77:
	s_delay_alu instid0(SALU_CYCLE_1) | instskip(SKIP_2) | instid1(VALU_DEP_1)
	s_or_b32 exec_lo, exec_lo, s3
	v_mov_b32_e32 v23, v19
	s_mov_b32 s3, exec_lo
	v_cmpx_gt_i64_e64 s[16:17], v[22:23]
	s_cbranch_execz .LBB30_101
; %bb.78:
	v_mad_u64_u32 v[10:11], null, v22, s22, 0
	s_delay_alu instid0(VALU_DEP_1) | instskip(NEXT) | instid1(VALU_DEP_1)
	v_mad_u64_u32 v[12:13], null, v22, s23, v[11:12]
	v_mov_b32_e32 v11, v12
	s_delay_alu instid0(VALU_DEP_1) | instskip(NEXT) | instid1(VALU_DEP_1)
	v_lshlrev_b64 v[10:11], 3, v[10:11]
	v_add_co_u32 v10, s0, v26, v10
	s_delay_alu instid0(VALU_DEP_1) | instskip(SKIP_1) | instid1(VALU_DEP_1)
	v_add_co_ci_u32_e64 v11, s0, v27, v11, s0
	v_add_co_u32 v18, s0, s20, v8
	v_add_co_ci_u32_e64 v21, s0, s21, v9, s0
	s_mov_b32 s0, exec_lo
	v_cmpx_gt_i64_e64 s[18:19], v[16:17]
	s_cbranch_execz .LBB30_82
; %bb.79:
	v_dual_mov_b32 v13, v11 :: v_dual_mov_b32 v12, v10
	s_and_not1_b32 vcc_lo, exec_lo, s2
	s_cbranch_vccnz .LBB30_81
; %bb.80:
	v_mul_lo_u32 v14, v17, s22
	v_mul_lo_u32 v15, v16, s23
	v_mad_u64_u32 v[12:13], null, v16, s22, 0
	s_delay_alu instid0(VALU_DEP_1) | instskip(NEXT) | instid1(VALU_DEP_1)
	v_add3_u32 v13, v13, v15, v14
	v_lshlrev_b64 v[12:13], 3, v[12:13]
	s_delay_alu instid0(VALU_DEP_1) | instskip(NEXT) | instid1(VALU_DEP_2)
	v_add_co_u32 v12, vcc_lo, v18, v12
	v_add_co_ci_u32_e32 v13, vcc_lo, v21, v13, vcc_lo
	s_delay_alu instid0(VALU_DEP_2) | instskip(NEXT) | instid1(VALU_DEP_2)
	v_add_co_u32 v12, vcc_lo, 0x400, v12
	v_add_co_ci_u32_e32 v13, vcc_lo, 0, v13, vcc_lo
.LBB30_81:
	global_load_b64 v[12:13], v[12:13], off
	s_waitcnt vmcnt(0)
	v_cmp_neq_f64_e32 vcc_lo, 0, v[12:13]
	v_cndmask_b32_e64 v12, 0, 1, vcc_lo
	s_delay_alu instid0(VALU_DEP_1)
	v_add_co_u32 v4, vcc_lo, v4, v12
	v_add_co_ci_u32_e32 v5, vcc_lo, 0, v5, vcc_lo
.LBB30_82:
	s_or_b32 exec_lo, exec_lo, s0
	v_or_b32_e32 v12, 1, v16
	v_mov_b32_e32 v13, v17
	s_mov_b32 s0, exec_lo
	s_delay_alu instid0(VALU_DEP_1)
	v_cmpx_gt_i64_e64 s[18:19], v[12:13]
	s_cbranch_execz .LBB30_88
; %bb.83:
	s_and_not1_b32 vcc_lo, exec_lo, s1
	s_cbranch_vccnz .LBB30_85
; %bb.84:
	v_add_co_u32 v14, vcc_lo, v10, 8
	v_add_co_ci_u32_e32 v15, vcc_lo, 0, v11, vcc_lo
	s_cbranch_execz .LBB30_86
	s_branch .LBB30_87
.LBB30_85:
                                        ; implicit-def: $vgpr14_vgpr15
.LBB30_86:
	v_mul_lo_u32 v15, v13, s22
	v_mul_lo_u32 v22, v12, s23
	v_mad_u64_u32 v[13:14], null, v12, s22, 0
	s_delay_alu instid0(VALU_DEP_1) | instskip(NEXT) | instid1(VALU_DEP_1)
	v_add3_u32 v14, v14, v22, v15
	v_lshlrev_b64 v[12:13], 3, v[13:14]
	s_delay_alu instid0(VALU_DEP_1) | instskip(NEXT) | instid1(VALU_DEP_2)
	v_add_co_u32 v12, vcc_lo, v18, v12
	v_add_co_ci_u32_e32 v13, vcc_lo, v21, v13, vcc_lo
	s_delay_alu instid0(VALU_DEP_2) | instskip(NEXT) | instid1(VALU_DEP_2)
	v_add_co_u32 v14, vcc_lo, 0x400, v12
	v_add_co_ci_u32_e32 v15, vcc_lo, 0, v13, vcc_lo
.LBB30_87:
	global_load_b64 v[12:13], v[14:15], off
	s_waitcnt vmcnt(0)
	v_cmp_neq_f64_e32 vcc_lo, 0, v[12:13]
	v_cndmask_b32_e64 v12, 0, 1, vcc_lo
	s_delay_alu instid0(VALU_DEP_1)
	v_add_co_u32 v4, vcc_lo, v4, v12
	v_add_co_ci_u32_e32 v5, vcc_lo, 0, v5, vcc_lo
.LBB30_88:
	s_or_b32 exec_lo, exec_lo, s0
	v_or_b32_e32 v12, 2, v16
	v_mov_b32_e32 v13, v17
	s_mov_b32 s0, exec_lo
	s_delay_alu instid0(VALU_DEP_1)
	v_cmpx_gt_i64_e64 s[18:19], v[12:13]
	s_cbranch_execz .LBB30_94
; %bb.89:
	s_and_not1_b32 vcc_lo, exec_lo, s1
	s_cbranch_vccnz .LBB30_91
; %bb.90:
	v_add_co_u32 v14, vcc_lo, v10, 16
	v_add_co_ci_u32_e32 v15, vcc_lo, 0, v11, vcc_lo
	s_cbranch_execz .LBB30_92
	s_branch .LBB30_93
.LBB30_91:
                                        ; implicit-def: $vgpr14_vgpr15
.LBB30_92:
	v_mul_lo_u32 v15, v13, s22
	v_mul_lo_u32 v22, v12, s23
	v_mad_u64_u32 v[13:14], null, v12, s22, 0
	s_delay_alu instid0(VALU_DEP_1) | instskip(NEXT) | instid1(VALU_DEP_1)
	v_add3_u32 v14, v14, v22, v15
	v_lshlrev_b64 v[12:13], 3, v[13:14]
	s_delay_alu instid0(VALU_DEP_1) | instskip(NEXT) | instid1(VALU_DEP_2)
	v_add_co_u32 v12, vcc_lo, v18, v12
	v_add_co_ci_u32_e32 v13, vcc_lo, v21, v13, vcc_lo
	s_delay_alu instid0(VALU_DEP_2) | instskip(NEXT) | instid1(VALU_DEP_2)
	v_add_co_u32 v14, vcc_lo, 0x400, v12
	v_add_co_ci_u32_e32 v15, vcc_lo, 0, v13, vcc_lo
.LBB30_93:
	global_load_b64 v[12:13], v[14:15], off
	s_waitcnt vmcnt(0)
	v_cmp_neq_f64_e32 vcc_lo, 0, v[12:13]
	v_cndmask_b32_e64 v12, 0, 1, vcc_lo
	s_delay_alu instid0(VALU_DEP_1)
	v_add_co_u32 v4, vcc_lo, v4, v12
	v_add_co_ci_u32_e32 v5, vcc_lo, 0, v5, vcc_lo
.LBB30_94:
	s_or_b32 exec_lo, exec_lo, s0
	v_or_b32_e32 v12, 3, v16
	v_mov_b32_e32 v13, v17
	s_mov_b32 s0, exec_lo
	s_delay_alu instid0(VALU_DEP_1)
	v_cmpx_gt_i64_e64 s[18:19], v[12:13]
	s_cbranch_execz .LBB30_100
; %bb.95:
	s_and_not1_b32 vcc_lo, exec_lo, s1
	s_cbranch_vccnz .LBB30_97
; %bb.96:
	v_add_co_u32 v10, vcc_lo, v10, 24
	v_add_co_ci_u32_e32 v11, vcc_lo, 0, v11, vcc_lo
	s_cbranch_execz .LBB30_98
	s_branch .LBB30_99
.LBB30_97:
                                        ; implicit-def: $vgpr10_vgpr11
.LBB30_98:
	v_mul_lo_u32 v13, v13, s22
	v_mul_lo_u32 v14, v12, s23
	v_mad_u64_u32 v[10:11], null, v12, s22, 0
	s_delay_alu instid0(VALU_DEP_1) | instskip(NEXT) | instid1(VALU_DEP_1)
	v_add3_u32 v11, v11, v14, v13
	v_lshlrev_b64 v[10:11], 3, v[10:11]
	s_delay_alu instid0(VALU_DEP_1) | instskip(NEXT) | instid1(VALU_DEP_2)
	v_add_co_u32 v10, vcc_lo, v18, v10
	v_add_co_ci_u32_e32 v11, vcc_lo, v21, v11, vcc_lo
	s_delay_alu instid0(VALU_DEP_2) | instskip(NEXT) | instid1(VALU_DEP_2)
	v_add_co_u32 v10, vcc_lo, 0x400, v10
	v_add_co_ci_u32_e32 v11, vcc_lo, 0, v11, vcc_lo
.LBB30_99:
	global_load_b64 v[10:11], v[10:11], off
	s_waitcnt vmcnt(0)
	v_cmp_neq_f64_e32 vcc_lo, 0, v[10:11]
	v_cndmask_b32_e64 v10, 0, 1, vcc_lo
	s_delay_alu instid0(VALU_DEP_1)
	v_add_co_u32 v4, vcc_lo, v4, v10
	v_add_co_ci_u32_e32 v5, vcc_lo, 0, v5, vcc_lo
.LBB30_100:
	s_or_b32 exec_lo, exec_lo, s0
.LBB30_101:
	s_delay_alu instid0(SALU_CYCLE_1) | instskip(SKIP_2) | instid1(VALU_DEP_1)
	s_or_b32 exec_lo, exec_lo, s3
	v_mov_b32_e32 v21, v19
	s_mov_b32 s3, exec_lo
	v_cmpx_gt_i64_e64 s[16:17], v[20:21]
	s_cbranch_execz .LBB30_125
; %bb.102:
	v_mad_u64_u32 v[10:11], null, v20, s22, 0
	s_delay_alu instid0(VALU_DEP_1) | instskip(NEXT) | instid1(VALU_DEP_1)
	v_mad_u64_u32 v[12:13], null, v20, s23, v[11:12]
	v_mov_b32_e32 v11, v12
	s_delay_alu instid0(VALU_DEP_1) | instskip(NEXT) | instid1(VALU_DEP_1)
	v_lshlrev_b64 v[10:11], 3, v[10:11]
	v_add_co_u32 v10, s0, v26, v10
	s_delay_alu instid0(VALU_DEP_1) | instskip(SKIP_1) | instid1(VALU_DEP_1)
	v_add_co_ci_u32_e64 v11, s0, v27, v11, s0
	v_add_co_u32 v14, s0, s20, v8
	v_add_co_ci_u32_e64 v15, s0, s21, v9, s0
	s_mov_b32 s0, exec_lo
	v_cmpx_gt_i64_e64 s[18:19], v[16:17]
	s_cbranch_execz .LBB30_106
; %bb.103:
	v_dual_mov_b32 v8, v10 :: v_dual_mov_b32 v9, v11
	s_and_not1_b32 vcc_lo, exec_lo, s2
	s_cbranch_vccnz .LBB30_105
; %bb.104:
	v_mul_lo_u32 v12, v17, s22
	v_mul_lo_u32 v13, v16, s23
	v_mad_u64_u32 v[8:9], null, v16, s22, 0
	s_delay_alu instid0(VALU_DEP_1) | instskip(NEXT) | instid1(VALU_DEP_1)
	v_add3_u32 v9, v9, v13, v12
	v_lshlrev_b64 v[8:9], 3, v[8:9]
	s_delay_alu instid0(VALU_DEP_1) | instskip(NEXT) | instid1(VALU_DEP_2)
	v_add_co_u32 v8, vcc_lo, v14, v8
	v_add_co_ci_u32_e32 v9, vcc_lo, v15, v9, vcc_lo
	s_delay_alu instid0(VALU_DEP_2) | instskip(NEXT) | instid1(VALU_DEP_2)
	v_add_co_u32 v8, vcc_lo, 0x600, v8
	v_add_co_ci_u32_e32 v9, vcc_lo, 0, v9, vcc_lo
.LBB30_105:
	global_load_b64 v[8:9], v[8:9], off
	s_waitcnt vmcnt(0)
	v_cmp_neq_f64_e32 vcc_lo, 0, v[8:9]
	v_cndmask_b32_e64 v8, 0, 1, vcc_lo
	s_delay_alu instid0(VALU_DEP_1)
	v_add_co_u32 v6, vcc_lo, v6, v8
	v_add_co_ci_u32_e32 v7, vcc_lo, 0, v7, vcc_lo
.LBB30_106:
	s_or_b32 exec_lo, exec_lo, s0
	v_or_b32_e32 v8, 1, v16
	v_mov_b32_e32 v9, v17
	v_cndmask_b32_e64 v18, 0, 1, s1
	s_mov_b32 s0, exec_lo
	s_delay_alu instid0(VALU_DEP_2)
	v_cmpx_gt_i64_e64 s[18:19], v[8:9]
	s_cbranch_execz .LBB30_112
; %bb.107:
	s_and_not1_b32 vcc_lo, exec_lo, s1
	s_cbranch_vccnz .LBB30_109
; %bb.108:
	v_add_co_u32 v12, vcc_lo, v10, 8
	v_add_co_ci_u32_e32 v13, vcc_lo, 0, v11, vcc_lo
	s_cbranch_execz .LBB30_110
	s_branch .LBB30_111
.LBB30_109:
                                        ; implicit-def: $vgpr12_vgpr13
.LBB30_110:
	v_mul_lo_u32 v9, v9, s22
	v_mul_lo_u32 v19, v8, s23
	v_mad_u64_u32 v[12:13], null, v8, s22, 0
	s_delay_alu instid0(VALU_DEP_1) | instskip(NEXT) | instid1(VALU_DEP_1)
	v_add3_u32 v13, v13, v19, v9
	v_lshlrev_b64 v[8:9], 3, v[12:13]
	s_delay_alu instid0(VALU_DEP_1) | instskip(NEXT) | instid1(VALU_DEP_2)
	v_add_co_u32 v8, vcc_lo, v14, v8
	v_add_co_ci_u32_e32 v9, vcc_lo, v15, v9, vcc_lo
	s_delay_alu instid0(VALU_DEP_2) | instskip(NEXT) | instid1(VALU_DEP_2)
	v_add_co_u32 v12, vcc_lo, 0x600, v8
	v_add_co_ci_u32_e32 v13, vcc_lo, 0, v9, vcc_lo
.LBB30_111:
	global_load_b64 v[8:9], v[12:13], off
	s_waitcnt vmcnt(0)
	v_cmp_neq_f64_e32 vcc_lo, 0, v[8:9]
	v_cndmask_b32_e64 v8, 0, 1, vcc_lo
	s_delay_alu instid0(VALU_DEP_1)
	v_add_co_u32 v6, vcc_lo, v6, v8
	v_add_co_ci_u32_e32 v7, vcc_lo, 0, v7, vcc_lo
.LBB30_112:
	s_or_b32 exec_lo, exec_lo, s0
	v_or_b32_e32 v8, 2, v16
	v_mov_b32_e32 v9, v17
	s_mov_b32 s0, exec_lo
	s_delay_alu instid0(VALU_DEP_1)
	v_cmpx_gt_i64_e64 s[18:19], v[8:9]
	s_cbranch_execz .LBB30_118
; %bb.113:
	v_cmp_ne_u32_e32 vcc_lo, 1, v18
	s_cbranch_vccnz .LBB30_115
; %bb.114:
	v_add_co_u32 v12, vcc_lo, v10, 16
	v_add_co_ci_u32_e32 v13, vcc_lo, 0, v11, vcc_lo
	s_cbranch_execz .LBB30_116
	s_branch .LBB30_117
.LBB30_115:
                                        ; implicit-def: $vgpr12_vgpr13
.LBB30_116:
	v_mul_lo_u32 v9, v9, s22
	v_mul_lo_u32 v19, v8, s23
	v_mad_u64_u32 v[12:13], null, v8, s22, 0
	s_delay_alu instid0(VALU_DEP_1) | instskip(NEXT) | instid1(VALU_DEP_1)
	v_add3_u32 v13, v13, v19, v9
	v_lshlrev_b64 v[8:9], 3, v[12:13]
	s_delay_alu instid0(VALU_DEP_1) | instskip(NEXT) | instid1(VALU_DEP_2)
	v_add_co_u32 v8, vcc_lo, v14, v8
	v_add_co_ci_u32_e32 v9, vcc_lo, v15, v9, vcc_lo
	s_delay_alu instid0(VALU_DEP_2) | instskip(NEXT) | instid1(VALU_DEP_2)
	v_add_co_u32 v12, vcc_lo, 0x600, v8
	v_add_co_ci_u32_e32 v13, vcc_lo, 0, v9, vcc_lo
.LBB30_117:
	global_load_b64 v[8:9], v[12:13], off
	s_waitcnt vmcnt(0)
	v_cmp_neq_f64_e32 vcc_lo, 0, v[8:9]
	v_cndmask_b32_e64 v8, 0, 1, vcc_lo
	s_delay_alu instid0(VALU_DEP_1)
	v_add_co_u32 v6, vcc_lo, v6, v8
	v_add_co_ci_u32_e32 v7, vcc_lo, 0, v7, vcc_lo
.LBB30_118:
	s_or_b32 exec_lo, exec_lo, s0
	v_or_b32_e32 v16, 3, v16
	s_mov_b32 s0, exec_lo
	s_delay_alu instid0(VALU_DEP_1)
	v_cmpx_gt_i64_e64 s[18:19], v[16:17]
	s_cbranch_execz .LBB30_124
; %bb.119:
	v_cmp_ne_u32_e32 vcc_lo, 1, v18
	s_cbranch_vccnz .LBB30_121
; %bb.120:
	v_add_co_u32 v8, vcc_lo, v10, 24
	v_add_co_ci_u32_e32 v9, vcc_lo, 0, v11, vcc_lo
	s_cbranch_execz .LBB30_122
	s_branch .LBB30_123
.LBB30_121:
                                        ; implicit-def: $vgpr8_vgpr9
.LBB30_122:
	v_mul_lo_u32 v10, v17, s22
	v_mul_lo_u32 v11, v16, s23
	v_mad_u64_u32 v[8:9], null, v16, s22, 0
	s_delay_alu instid0(VALU_DEP_1) | instskip(NEXT) | instid1(VALU_DEP_1)
	v_add3_u32 v9, v9, v11, v10
	v_lshlrev_b64 v[8:9], 3, v[8:9]
	s_delay_alu instid0(VALU_DEP_1) | instskip(NEXT) | instid1(VALU_DEP_2)
	v_add_co_u32 v8, vcc_lo, v14, v8
	v_add_co_ci_u32_e32 v9, vcc_lo, v15, v9, vcc_lo
	s_delay_alu instid0(VALU_DEP_2) | instskip(NEXT) | instid1(VALU_DEP_2)
	v_add_co_u32 v8, vcc_lo, 0x600, v8
	v_add_co_ci_u32_e32 v9, vcc_lo, 0, v9, vcc_lo
.LBB30_123:
	global_load_b64 v[8:9], v[8:9], off
	s_waitcnt vmcnt(0)
	v_cmp_neq_f64_e32 vcc_lo, 0, v[8:9]
	v_cndmask_b32_e64 v8, 0, 1, vcc_lo
	s_delay_alu instid0(VALU_DEP_1)
	v_add_co_u32 v6, vcc_lo, v6, v8
	v_add_co_ci_u32_e32 v7, vcc_lo, 0, v7, vcc_lo
.LBB30_124:
	s_or_b32 exec_lo, exec_lo, s0
.LBB30_125:
	s_delay_alu instid0(SALU_CYCLE_1)
	s_or_b32 exec_lo, exec_lo, s3
.LBB30_126:
	v_lshlrev_b32_e32 v8, 2, v30
	s_mov_b32 s0, exec_lo
	s_delay_alu instid0(VALU_DEP_1) | instskip(NEXT) | instid1(VALU_DEP_1)
	v_and_or_b32 v8, 0x1fffff00, v8, v31
	v_lshlrev_b32_e32 v8, 3, v8
	ds_store_2addr_stride64_b64 v8, v[0:1], v[2:3] offset1:1
	ds_store_2addr_stride64_b64 v8, v[4:5], v[6:7] offset0:2 offset1:3
	s_waitcnt lgkmcnt(0)
	s_barrier
	buffer_gl0_inv
	v_cmpx_gt_u32_e32 0x100, v30
	s_cbranch_execz .LBB30_129
; %bb.127:
	v_lshlrev_b32_e32 v12, 3, v30
	ds_load_2addr_stride64_b64 v[0:3], v12 offset1:4
	ds_load_2addr_stride64_b64 v[4:7], v12 offset0:8 offset1:12
	ds_load_2addr_stride64_b64 v[8:11], v12 offset0:16 offset1:20
	s_waitcnt lgkmcnt(2)
	v_add_co_u32 v13, vcc_lo, v0, v2
	v_add_co_ci_u32_e32 v14, vcc_lo, v1, v3, vcc_lo
	ds_load_2addr_stride64_b64 v[0:3], v12 offset0:24 offset1:28
	s_waitcnt lgkmcnt(2)
	v_add_co_u32 v4, vcc_lo, v13, v4
	v_add_co_ci_u32_e32 v5, vcc_lo, v14, v5, vcc_lo
	s_delay_alu instid0(VALU_DEP_2) | instskip(NEXT) | instid1(VALU_DEP_2)
	v_add_co_u32 v13, vcc_lo, v4, v6
	v_add_co_ci_u32_e32 v14, vcc_lo, v5, v7, vcc_lo
	ds_load_2addr_stride64_b64 v[4:7], v12 offset0:32 offset1:36
	s_waitcnt lgkmcnt(2)
	v_add_co_u32 v8, vcc_lo, v13, v8
	v_add_co_ci_u32_e32 v9, vcc_lo, v14, v9, vcc_lo
	s_delay_alu instid0(VALU_DEP_2) | instskip(NEXT) | instid1(VALU_DEP_2)
	v_add_co_u32 v13, vcc_lo, v8, v10
	v_add_co_ci_u32_e32 v14, vcc_lo, v9, v11, vcc_lo
	ds_load_2addr_stride64_b64 v[8:11], v12 offset0:40 offset1:44
	s_waitcnt lgkmcnt(2)
	v_add_co_u32 v0, vcc_lo, v13, v0
	v_add_co_ci_u32_e32 v1, vcc_lo, v14, v1, vcc_lo
	s_delay_alu instid0(VALU_DEP_2) | instskip(NEXT) | instid1(VALU_DEP_2)
	v_add_co_u32 v13, vcc_lo, v0, v2
	v_add_co_ci_u32_e32 v14, vcc_lo, v1, v3, vcc_lo
	ds_load_2addr_stride64_b64 v[0:3], v12 offset0:48 offset1:52
	s_waitcnt lgkmcnt(2)
	v_add_co_u32 v4, vcc_lo, v13, v4
	v_add_co_ci_u32_e32 v5, vcc_lo, v14, v5, vcc_lo
	s_delay_alu instid0(VALU_DEP_2) | instskip(NEXT) | instid1(VALU_DEP_2)
	v_add_co_u32 v13, vcc_lo, v4, v6
	v_add_co_ci_u32_e32 v14, vcc_lo, v5, v7, vcc_lo
	ds_load_2addr_stride64_b64 v[4:7], v12 offset0:56 offset1:60
	s_waitcnt lgkmcnt(2)
	v_add_co_u32 v8, vcc_lo, v13, v8
	v_add_co_ci_u32_e32 v9, vcc_lo, v14, v9, vcc_lo
	s_delay_alu instid0(VALU_DEP_2) | instskip(NEXT) | instid1(VALU_DEP_2)
	v_add_co_u32 v8, vcc_lo, v8, v10
	v_add_co_ci_u32_e32 v9, vcc_lo, v9, v11, vcc_lo
	s_waitcnt lgkmcnt(1)
	s_delay_alu instid0(VALU_DEP_2) | instskip(NEXT) | instid1(VALU_DEP_2)
	v_add_co_u32 v0, vcc_lo, v8, v0
	v_add_co_ci_u32_e32 v1, vcc_lo, v9, v1, vcc_lo
	s_delay_alu instid0(VALU_DEP_2) | instskip(NEXT) | instid1(VALU_DEP_2)
	v_add_co_u32 v0, vcc_lo, v0, v2
	v_add_co_ci_u32_e32 v1, vcc_lo, v1, v3, vcc_lo
	v_add_co_u32 v2, s0, v30, s5
	s_waitcnt lgkmcnt(0)
	s_delay_alu instid0(VALU_DEP_3) | instskip(NEXT) | instid1(VALU_DEP_3)
	v_add_co_u32 v0, vcc_lo, v0, v4
	v_add_co_ci_u32_e32 v1, vcc_lo, v1, v5, vcc_lo
	v_add_co_ci_u32_e64 v3, null, 0, 0, s0
	s_delay_alu instid0(VALU_DEP_3) | instskip(NEXT) | instid1(VALU_DEP_3)
	v_add_co_u32 v0, vcc_lo, v0, v6
	v_add_co_ci_u32_e32 v1, vcc_lo, v1, v7, vcc_lo
	s_delay_alu instid0(VALU_DEP_3)
	v_cmp_gt_i64_e32 vcc_lo, s[16:17], v[2:3]
	ds_store_b64 v12, v[0:1]
	s_and_b32 exec_lo, exec_lo, vcc_lo
	s_cbranch_execz .LBB30_129
; %bb.128:
	v_lshlrev_b64 v[2:3], 3, v[2:3]
	s_delay_alu instid0(VALU_DEP_1) | instskip(NEXT) | instid1(VALU_DEP_2)
	v_add_co_u32 v2, vcc_lo, s6, v2
	v_add_co_ci_u32_e32 v3, vcc_lo, s7, v3, vcc_lo
	global_store_b64 v[2:3], v[0:1], off
.LBB30_129:
	s_nop 0
	s_sendmsg sendmsg(MSG_DEALLOC_VGPRS)
	s_endpgm
	.section	.rodata,"a",@progbits
	.p2align	6, 0x0
	.amdhsa_kernel _ZN9rocsparseL14nnz_kernel_rowILi64ELi16ElldEEv16rocsparse_order_T2_S2_PKT3_lPT1_
		.amdhsa_group_segment_fixed_size 32768
		.amdhsa_private_segment_fixed_size 0
		.amdhsa_kernarg_size 304
		.amdhsa_user_sgpr_count 15
		.amdhsa_user_sgpr_dispatch_ptr 0
		.amdhsa_user_sgpr_queue_ptr 0
		.amdhsa_user_sgpr_kernarg_segment_ptr 1
		.amdhsa_user_sgpr_dispatch_id 0
		.amdhsa_user_sgpr_private_segment_size 0
		.amdhsa_wavefront_size32 1
		.amdhsa_uses_dynamic_stack 0
		.amdhsa_enable_private_segment 0
		.amdhsa_system_sgpr_workgroup_id_x 1
		.amdhsa_system_sgpr_workgroup_id_y 0
		.amdhsa_system_sgpr_workgroup_id_z 0
		.amdhsa_system_sgpr_workgroup_info 0
		.amdhsa_system_vgpr_workitem_id 1
		.amdhsa_next_free_vgpr 44
		.amdhsa_next_free_sgpr 30
		.amdhsa_reserve_vcc 1
		.amdhsa_float_round_mode_32 0
		.amdhsa_float_round_mode_16_64 0
		.amdhsa_float_denorm_mode_32 3
		.amdhsa_float_denorm_mode_16_64 3
		.amdhsa_dx10_clamp 1
		.amdhsa_ieee_mode 1
		.amdhsa_fp16_overflow 0
		.amdhsa_workgroup_processor_mode 1
		.amdhsa_memory_ordered 1
		.amdhsa_forward_progress 0
		.amdhsa_shared_vgpr_count 0
		.amdhsa_exception_fp_ieee_invalid_op 0
		.amdhsa_exception_fp_denorm_src 0
		.amdhsa_exception_fp_ieee_div_zero 0
		.amdhsa_exception_fp_ieee_overflow 0
		.amdhsa_exception_fp_ieee_underflow 0
		.amdhsa_exception_fp_ieee_inexact 0
		.amdhsa_exception_int_div_zero 0
	.end_amdhsa_kernel
	.section	.text._ZN9rocsparseL14nnz_kernel_rowILi64ELi16ElldEEv16rocsparse_order_T2_S2_PKT3_lPT1_,"axG",@progbits,_ZN9rocsparseL14nnz_kernel_rowILi64ELi16ElldEEv16rocsparse_order_T2_S2_PKT3_lPT1_,comdat
.Lfunc_end30:
	.size	_ZN9rocsparseL14nnz_kernel_rowILi64ELi16ElldEEv16rocsparse_order_T2_S2_PKT3_lPT1_, .Lfunc_end30-_ZN9rocsparseL14nnz_kernel_rowILi64ELi16ElldEEv16rocsparse_order_T2_S2_PKT3_lPT1_
                                        ; -- End function
	.section	.AMDGPU.csdata,"",@progbits
; Kernel info:
; codeLenInByte = 6608
; NumSgprs: 32
; NumVgprs: 44
; ScratchSize: 0
; MemoryBound: 0
; FloatMode: 240
; IeeeMode: 1
; LDSByteSize: 32768 bytes/workgroup (compile time only)
; SGPRBlocks: 3
; VGPRBlocks: 5
; NumSGPRsForWavesPerEU: 32
; NumVGPRsForWavesPerEU: 44
; Occupancy: 16
; WaveLimiterHint : 0
; COMPUTE_PGM_RSRC2:SCRATCH_EN: 0
; COMPUTE_PGM_RSRC2:USER_SGPR: 15
; COMPUTE_PGM_RSRC2:TRAP_HANDLER: 0
; COMPUTE_PGM_RSRC2:TGID_X_EN: 1
; COMPUTE_PGM_RSRC2:TGID_Y_EN: 0
; COMPUTE_PGM_RSRC2:TGID_Z_EN: 0
; COMPUTE_PGM_RSRC2:TIDIG_COMP_CNT: 1
	.section	.text._ZN9rocsparseL14nnz_kernel_colILi256ElldEEv16rocsparse_order_T1_S2_PKT2_lPT0_,"axG",@progbits,_ZN9rocsparseL14nnz_kernel_colILi256ElldEEv16rocsparse_order_T1_S2_PKT2_lPT0_,comdat
	.globl	_ZN9rocsparseL14nnz_kernel_colILi256ElldEEv16rocsparse_order_T1_S2_PKT2_lPT0_ ; -- Begin function _ZN9rocsparseL14nnz_kernel_colILi256ElldEEv16rocsparse_order_T1_S2_PKT2_lPT0_
	.p2align	8
	.type	_ZN9rocsparseL14nnz_kernel_colILi256ElldEEv16rocsparse_order_T1_S2_PKT2_lPT0_,@function
_ZN9rocsparseL14nnz_kernel_colILi256ElldEEv16rocsparse_order_T1_S2_PKT2_lPT0_: ; @_ZN9rocsparseL14nnz_kernel_colILi256ElldEEv16rocsparse_order_T1_S2_PKT2_lPT0_
; %bb.0:
	s_clause 0x2
	s_load_b64 s[10:11], s[0:1], 0x8
	s_load_b32 s3, s[0:1], 0x0
	s_load_b128 s[4:7], s[0:1], 0x18
	v_mov_b32_e32 v1, 0
	s_mov_b32 s8, s15
	s_waitcnt lgkmcnt(0)
	s_ashr_i32 s2, s11, 31
	s_delay_alu instid0(SALU_CYCLE_1) | instskip(NEXT) | instid1(SALU_CYCLE_1)
	s_lshr_b32 s2, s2, 24
	s_add_u32 s9, s10, s2
	v_cmp_gt_i64_e64 s2, 0x100, s[10:11]
	s_addc_u32 s13, s11, 0
	s_and_b32 s12, s9, 0xffffff00
	s_cmp_eq_u32 s3, 1
	s_mov_b32 s9, 0
	s_cbranch_scc1 .LBB31_6
; %bb.1:
	v_mov_b32_e32 v2, 0
	v_mov_b32_e32 v3, 0
	s_and_b32 vcc_lo, exec_lo, s2
	s_cbranch_vccnz .LBB31_7
; %bb.2:
	v_mad_u64_u32 v[2:3], null, s6, v0, 0
	s_lshl_b64 s[2:3], s[8:9], 3
	s_mov_b64 s[14:15], 0
	s_add_u32 s2, s4, s2
	s_addc_u32 s3, s5, s3
	s_delay_alu instid0(VALU_DEP_1) | instskip(NEXT) | instid1(VALU_DEP_1)
	v_mad_u64_u32 v[4:5], null, s7, v0, v[3:4]
	v_mov_b32_e32 v3, v4
	s_delay_alu instid0(VALU_DEP_1) | instskip(SKIP_2) | instid1(VALU_DEP_3)
	v_lshlrev_b64 v[4:5], 3, v[2:3]
	v_mov_b32_e32 v2, 0
	v_mov_b32_e32 v3, 0
	v_add_co_u32 v4, vcc_lo, s2, v4
	s_delay_alu instid0(VALU_DEP_4)
	v_add_co_ci_u32_e32 v5, vcc_lo, s3, v5, vcc_lo
	s_lshl_b64 s[2:3], s[6:7], 11
	s_set_inst_prefetch_distance 0x1
	s_branch .LBB31_4
	.p2align	6
.LBB31_3:                               ;   in Loop: Header=BB31_4 Depth=1
	s_or_b32 exec_lo, exec_lo, s16
	s_add_u32 s14, s14, 0x100
	s_addc_u32 s15, s15, 0
	v_add_co_u32 v4, vcc_lo, v4, s2
	v_cmp_ge_i64_e64 s16, s[14:15], s[12:13]
	v_add_co_ci_u32_e32 v5, vcc_lo, s3, v5, vcc_lo
	s_delay_alu instid0(VALU_DEP_2)
	s_and_b32 vcc_lo, exec_lo, s16
	s_cbranch_vccnz .LBB31_7
.LBB31_4:                               ; =>This Inner Loop Header: Depth=1
	v_add_co_u32 v6, s16, v0, s14
	s_delay_alu instid0(VALU_DEP_1) | instskip(SKIP_1) | instid1(VALU_DEP_1)
	v_add_co_ci_u32_e64 v7, null, 0, s15, s16
	s_mov_b32 s16, exec_lo
	v_cmpx_gt_i64_e64 s[10:11], v[6:7]
	s_cbranch_execz .LBB31_3
; %bb.5:                                ;   in Loop: Header=BB31_4 Depth=1
	global_load_b64 v[6:7], v[4:5], off
	s_waitcnt vmcnt(0)
	v_cmp_neq_f64_e32 vcc_lo, 0, v[6:7]
	v_cndmask_b32_e64 v6, 0, 1, vcc_lo
	s_delay_alu instid0(VALU_DEP_1)
	v_add_co_u32 v2, vcc_lo, v2, v6
	v_add_co_ci_u32_e32 v3, vcc_lo, 0, v3, vcc_lo
	s_branch .LBB31_3
.LBB31_6:
	s_mov_b32 s3, s9
                                        ; implicit-def: $vgpr2_vgpr3
                                        ; implicit-def: $vgpr4_vgpr5
	s_cbranch_execnz .LBB31_10
	s_branch .LBB31_16
.LBB31_7:
	s_set_inst_prefetch_distance 0x2
	v_add_co_u32 v6, s2, s12, v0
	s_delay_alu instid0(VALU_DEP_1) | instskip(SKIP_3) | instid1(VALU_DEP_1)
	v_add_co_ci_u32_e64 v7, null, s13, 0, s2
	s_mov_b32 s2, 0
	s_mov_b32 s3, 0
	s_mov_b32 s14, exec_lo
                                        ; implicit-def: $vgpr4_vgpr5
	v_cmpx_gt_i64_e64 s[10:11], v[6:7]
	s_xor_b32 s14, exec_lo, s14
; %bb.8:
	v_mul_lo_u32 v7, v7, s6
	v_mul_lo_u32 v8, v6, s7
	v_mad_u64_u32 v[4:5], null, v6, s6, 0
	s_lshl_b64 s[16:17], s[8:9], 3
	s_mov_b32 s3, exec_lo
	s_add_u32 s15, s16, s4
	s_addc_u32 s16, s17, s5
	s_delay_alu instid0(VALU_DEP_1) | instskip(NEXT) | instid1(VALU_DEP_1)
	v_add3_u32 v5, v5, v8, v7
	v_lshlrev_b64 v[4:5], 3, v[4:5]
	s_delay_alu instid0(VALU_DEP_1) | instskip(NEXT) | instid1(VALU_DEP_2)
	v_add_co_u32 v4, vcc_lo, s15, v4
	v_add_co_ci_u32_e32 v5, vcc_lo, s16, v5, vcc_lo
; %bb.9:
	s_or_b32 exec_lo, exec_lo, s14
	s_delay_alu instid0(SALU_CYCLE_1)
	s_and_b32 vcc_lo, exec_lo, s2
	s_cbranch_vccz .LBB31_16
.LBB31_10:
	v_cmp_gt_i64_e32 vcc_lo, s[10:11], v[0:1]
	s_mul_i32 s2, s8, s7
	s_mul_hi_u32 s7, s8, s6
	s_mul_i32 s6, s8, s6
	s_add_i32 s7, s7, s2
	v_dual_mov_b32 v2, 0 :: v_dual_cndmask_b32 v1, 0, v0
	s_lshl_b64 s[6:7], s[6:7], 3
	v_mov_b32_e32 v3, 0
	s_add_u32 s2, s4, s6
	s_addc_u32 s4, s5, s7
	v_lshlrev_b32_e32 v1, 3, v1
	v_cmp_gt_i64_e64 s5, 0x100, s[10:11]
	s_delay_alu instid0(VALU_DEP_2) | instskip(NEXT) | instid1(VALU_DEP_1)
	v_add_co_u32 v6, s2, s2, v1
	v_add_co_ci_u32_e64 v7, null, s4, 0, s2
	s_delay_alu instid0(VALU_DEP_3)
	s_and_b32 vcc_lo, exec_lo, s5
	s_cbranch_vccnz .LBB31_13
; %bb.11:
	v_mov_b32_e32 v2, 0
	v_dual_mov_b32 v3, 0 :: v_dual_mov_b32 v4, v6
	v_mov_b32_e32 v5, v7
	s_mov_b64 s[4:5], 0
	.p2align	6
.LBB31_12:                              ; =>This Inner Loop Header: Depth=1
	global_load_b64 v[8:9], v[4:5], off
	v_add_co_u32 v4, vcc_lo, 0x800, v4
	v_add_co_ci_u32_e32 v5, vcc_lo, 0, v5, vcc_lo
	s_add_u32 s4, s4, 0x100
	s_addc_u32 s5, s5, 0
	s_delay_alu instid0(SALU_CYCLE_1) | instskip(SKIP_3) | instid1(VALU_DEP_3)
	v_cmp_ge_i64_e64 s2, s[4:5], s[12:13]
	s_waitcnt vmcnt(0)
	v_cmp_neq_f64_e32 vcc_lo, 0, v[8:9]
	v_cndmask_b32_e64 v1, 0, 1, vcc_lo
	s_and_b32 vcc_lo, exec_lo, s2
	s_delay_alu instid0(VALU_DEP_1) | instskip(NEXT) | instid1(VALU_DEP_1)
	v_add_co_u32 v2, s2, v2, v1
	v_add_co_ci_u32_e64 v3, s2, 0, v3, s2
	s_cbranch_vccz .LBB31_12
.LBB31_13:
	v_add_co_u32 v4, s2, s12, v0
	s_delay_alu instid0(VALU_DEP_1) | instskip(NEXT) | instid1(VALU_DEP_1)
	v_add_co_ci_u32_e64 v5, null, s13, 0, s2
	v_cmp_gt_i64_e32 vcc_lo, s[10:11], v[4:5]
                                        ; implicit-def: $vgpr4_vgpr5
	s_and_saveexec_b32 s2, vcc_lo
; %bb.14:
	s_lshl_b64 s[4:5], s[12:13], 3
	s_or_b32 s3, s3, exec_lo
	v_add_co_u32 v4, vcc_lo, v6, s4
	v_add_co_ci_u32_e32 v5, vcc_lo, s5, v7, vcc_lo
; %bb.15:
	s_or_b32 exec_lo, exec_lo, s2
.LBB31_16:
	s_and_saveexec_b32 s2, s3
	s_cbranch_execz .LBB31_18
; %bb.17:
	global_load_b64 v[4:5], v[4:5], off
	s_waitcnt vmcnt(0)
	v_cmp_neq_f64_e32 vcc_lo, 0, v[4:5]
	v_cndmask_b32_e64 v1, 0, 1, vcc_lo
	s_delay_alu instid0(VALU_DEP_1)
	v_add_co_u32 v2, vcc_lo, v2, v1
	v_add_co_ci_u32_e32 v3, vcc_lo, 0, v3, vcc_lo
.LBB31_18:
	s_or_b32 exec_lo, exec_lo, s2
	v_cmp_gt_i64_e64 s2, 0x100, s[10:11]
	v_lshlrev_b32_e32 v4, 3, v0
	s_mov_b32 s3, -1
	ds_store_b64 v4, v[2:3]
	s_and_b32 vcc_lo, exec_lo, s2
	v_cmp_eq_u32_e64 s2, 0, v0
	s_waitcnt lgkmcnt(0)
	s_cbranch_vccz .LBB31_28
; %bb.19:
	v_cmp_gt_i64_e64 s3, s[10:11], 1
	s_mov_b64 s[4:5], 1
	s_barrier
	buffer_gl0_inv
	s_and_b32 s2, s2, s3
	s_delay_alu instid0(SALU_CYCLE_1)
	s_and_saveexec_b32 s5, s2
	s_cbranch_execz .LBB31_27
; %bb.20:
	v_mov_b32_e32 v1, 0
	s_add_u32 s12, s10, -1
	s_addc_u32 s3, s11, -1
	s_add_u32 s6, s10, -2
	s_addc_u32 s7, s11, -1
	ds_load_b64 v[1:2], v1
	v_cmp_lt_u64_e64 s2, s[6:7], 7
	s_delay_alu instid0(VALU_DEP_1)
	s_and_b32 vcc_lo, exec_lo, s2
	s_cbranch_vccnz .LBB31_23
; %bb.21:
	s_and_b32 s2, s12, -8
	s_mov_b64 s[6:7], 0
	s_mov_b32 s10, 8
	s_set_inst_prefetch_distance 0x1
	.p2align	6
.LBB31_22:                              ; =>This Inner Loop Header: Depth=1
	v_mov_b32_e32 v3, s10
	s_add_u32 s14, s6, 8
	s_addc_u32 s15, s7, 0
	s_add_i32 s10, s10, 64
	s_add_u32 s4, s6, 9
	ds_load_2addr_b64 v[5:8], v3 offset1:1
	ds_load_2addr_b64 v[9:12], v3 offset0:2 offset1:3
	ds_load_2addr_b64 v[13:16], v3 offset0:4 offset1:5
	s_cmp_lg_u64 s[2:3], s[14:15]
	s_mov_b64 s[6:7], s[14:15]
	s_waitcnt lgkmcnt(2)
	v_add_co_u32 v1, vcc_lo, v1, v5
	v_add_co_ci_u32_e32 v2, vcc_lo, v2, v6, vcc_lo
	s_delay_alu instid0(VALU_DEP_2) | instskip(NEXT) | instid1(VALU_DEP_2)
	v_add_co_u32 v1, vcc_lo, v1, v7
	v_add_co_ci_u32_e32 v2, vcc_lo, v2, v8, vcc_lo
	ds_load_2addr_b64 v[5:8], v3 offset0:6 offset1:7
	s_waitcnt lgkmcnt(2)
	v_add_co_u32 v1, vcc_lo, v1, v9
	v_add_co_ci_u32_e32 v2, vcc_lo, v2, v10, vcc_lo
	s_delay_alu instid0(VALU_DEP_2) | instskip(NEXT) | instid1(VALU_DEP_2)
	v_add_co_u32 v1, vcc_lo, v1, v11
	v_add_co_ci_u32_e32 v2, vcc_lo, v2, v12, vcc_lo
	s_waitcnt lgkmcnt(1)
	s_delay_alu instid0(VALU_DEP_2) | instskip(NEXT) | instid1(VALU_DEP_2)
	v_add_co_u32 v1, vcc_lo, v1, v13
	v_add_co_ci_u32_e32 v2, vcc_lo, v2, v14, vcc_lo
	s_delay_alu instid0(VALU_DEP_2) | instskip(NEXT) | instid1(VALU_DEP_2)
	v_add_co_u32 v1, vcc_lo, v1, v15
	v_add_co_ci_u32_e32 v2, vcc_lo, v2, v16, vcc_lo
	s_waitcnt lgkmcnt(0)
	s_delay_alu instid0(VALU_DEP_2) | instskip(NEXT) | instid1(VALU_DEP_2)
	v_add_co_u32 v1, vcc_lo, v1, v5
	v_add_co_ci_u32_e32 v2, vcc_lo, v2, v6, vcc_lo
	s_delay_alu instid0(VALU_DEP_2) | instskip(NEXT) | instid1(VALU_DEP_2)
	v_add_co_u32 v1, vcc_lo, v1, v7
	v_add_co_ci_u32_e32 v2, vcc_lo, v2, v8, vcc_lo
	s_cbranch_scc1 .LBB31_22
.LBB31_23:
	s_set_inst_prefetch_distance 0x2
	s_and_b32 s2, s12, 7
	s_mov_b32 s3, 0
	s_delay_alu instid0(SALU_CYCLE_1)
	s_cmp_eq_u64 s[2:3], 0
	s_cbranch_scc1 .LBB31_26
; %bb.24:
	s_lshl_b32 s4, s4, 3
.LBB31_25:                              ; =>This Inner Loop Header: Depth=1
	s_delay_alu instid0(SALU_CYCLE_1) | instskip(SKIP_3) | instid1(SALU_CYCLE_1)
	v_mov_b32_e32 v3, s4
	s_add_i32 s4, s4, 8
	s_add_u32 s2, s2, -1
	s_addc_u32 s3, s3, -1
	s_cmp_lg_u64 s[2:3], 0
	ds_load_b64 v[5:6], v3
	s_waitcnt lgkmcnt(0)
	v_add_co_u32 v1, vcc_lo, v1, v5
	v_add_co_ci_u32_e32 v2, vcc_lo, v2, v6, vcc_lo
	s_cbranch_scc1 .LBB31_25
.LBB31_26:
	v_mov_b32_e32 v3, 0
	s_waitcnt lgkmcnt(0)
	ds_store_b64 v3, v[1:2]
.LBB31_27:
	s_or_b32 exec_lo, exec_lo, s5
	s_mov_b32 s3, 0
	s_waitcnt lgkmcnt(0)
	s_barrier
.LBB31_28:
	s_and_b32 vcc_lo, exec_lo, s3
	s_cbranch_vccz .LBB31_46
; %bb.29:
	s_mov_b32 s2, exec_lo
	s_barrier
	buffer_gl0_inv
	v_cmpx_gt_u32_e32 0x80, v0
	s_cbranch_execz .LBB31_31
; %bb.30:
	ds_load_2addr_stride64_b64 v[5:8], v4 offset1:2
	s_waitcnt lgkmcnt(0)
	v_add_co_u32 v1, vcc_lo, v5, v7
	v_add_co_ci_u32_e32 v2, vcc_lo, v6, v8, vcc_lo
	ds_store_b64 v4, v[1:2]
.LBB31_31:
	s_or_b32 exec_lo, exec_lo, s2
	s_delay_alu instid0(SALU_CYCLE_1)
	s_mov_b32 s2, exec_lo
	s_waitcnt lgkmcnt(0)
	s_barrier
	buffer_gl0_inv
	v_cmpx_gt_u32_e32 64, v0
	s_cbranch_execz .LBB31_33
; %bb.32:
	ds_load_2addr_stride64_b64 v[5:8], v4 offset1:1
	s_waitcnt lgkmcnt(0)
	v_add_co_u32 v1, vcc_lo, v5, v7
	v_add_co_ci_u32_e32 v2, vcc_lo, v6, v8, vcc_lo
	ds_store_b64 v4, v[1:2]
.LBB31_33:
	s_or_b32 exec_lo, exec_lo, s2
	s_delay_alu instid0(SALU_CYCLE_1)
	s_mov_b32 s2, exec_lo
	s_waitcnt lgkmcnt(0)
	s_barrier
	buffer_gl0_inv
	v_cmpx_gt_u32_e32 32, v0
	s_cbranch_execz .LBB31_35
; %bb.34:
	ds_load_2addr_b64 v[5:8], v4 offset1:32
	s_waitcnt lgkmcnt(0)
	v_add_co_u32 v1, vcc_lo, v5, v7
	v_add_co_ci_u32_e32 v2, vcc_lo, v6, v8, vcc_lo
	ds_store_b64 v4, v[1:2]
.LBB31_35:
	s_or_b32 exec_lo, exec_lo, s2
	s_delay_alu instid0(SALU_CYCLE_1)
	s_mov_b32 s2, exec_lo
	s_waitcnt lgkmcnt(0)
	s_barrier
	buffer_gl0_inv
	v_cmpx_gt_u32_e32 16, v0
	s_cbranch_execz .LBB31_37
; %bb.36:
	ds_load_2addr_b64 v[5:8], v4 offset1:16
	s_waitcnt lgkmcnt(0)
	v_add_co_u32 v1, vcc_lo, v5, v7
	v_add_co_ci_u32_e32 v2, vcc_lo, v6, v8, vcc_lo
	ds_store_b64 v4, v[1:2]
.LBB31_37:
	;; [unrolled: 15-line block ×5, first 2 shown]
	s_or_b32 exec_lo, exec_lo, s2
	s_delay_alu instid0(SALU_CYCLE_1)
	s_mov_b32 s2, exec_lo
	s_waitcnt lgkmcnt(0)
	s_barrier
	buffer_gl0_inv
	v_cmpx_eq_u32_e32 0, v0
	s_cbranch_execz .LBB31_45
; %bb.44:
	v_mov_b32_e32 v5, 0
	ds_load_b128 v[1:4], v5
	s_waitcnt lgkmcnt(0)
	v_add_co_u32 v1, vcc_lo, v1, v3
	v_add_co_ci_u32_e32 v2, vcc_lo, v2, v4, vcc_lo
	ds_store_b64 v5, v[1:2]
.LBB31_45:
	s_or_b32 exec_lo, exec_lo, s2
	s_waitcnt lgkmcnt(0)
	s_barrier
.LBB31_46:
	buffer_gl0_inv
	s_mov_b32 s2, exec_lo
	v_cmpx_eq_u32_e32 0, v0
	s_cbranch_execz .LBB31_48
; %bb.47:
	v_mov_b32_e32 v2, 0
	s_load_b64 s[0:1], s[0:1], 0x28
	s_lshl_b64 s[2:3], s[8:9], 3
	ds_load_b64 v[0:1], v2
	s_waitcnt lgkmcnt(0)
	s_add_u32 s0, s0, s2
	s_addc_u32 s1, s1, s3
	global_store_b64 v2, v[0:1], s[0:1]
.LBB31_48:
	s_nop 0
	s_sendmsg sendmsg(MSG_DEALLOC_VGPRS)
	s_endpgm
	.section	.rodata,"a",@progbits
	.p2align	6, 0x0
	.amdhsa_kernel _ZN9rocsparseL14nnz_kernel_colILi256ElldEEv16rocsparse_order_T1_S2_PKT2_lPT0_
		.amdhsa_group_segment_fixed_size 2048
		.amdhsa_private_segment_fixed_size 0
		.amdhsa_kernarg_size 48
		.amdhsa_user_sgpr_count 15
		.amdhsa_user_sgpr_dispatch_ptr 0
		.amdhsa_user_sgpr_queue_ptr 0
		.amdhsa_user_sgpr_kernarg_segment_ptr 1
		.amdhsa_user_sgpr_dispatch_id 0
		.amdhsa_user_sgpr_private_segment_size 0
		.amdhsa_wavefront_size32 1
		.amdhsa_uses_dynamic_stack 0
		.amdhsa_enable_private_segment 0
		.amdhsa_system_sgpr_workgroup_id_x 1
		.amdhsa_system_sgpr_workgroup_id_y 0
		.amdhsa_system_sgpr_workgroup_id_z 0
		.amdhsa_system_sgpr_workgroup_info 0
		.amdhsa_system_vgpr_workitem_id 0
		.amdhsa_next_free_vgpr 17
		.amdhsa_next_free_sgpr 18
		.amdhsa_reserve_vcc 1
		.amdhsa_float_round_mode_32 0
		.amdhsa_float_round_mode_16_64 0
		.amdhsa_float_denorm_mode_32 3
		.amdhsa_float_denorm_mode_16_64 3
		.amdhsa_dx10_clamp 1
		.amdhsa_ieee_mode 1
		.amdhsa_fp16_overflow 0
		.amdhsa_workgroup_processor_mode 1
		.amdhsa_memory_ordered 1
		.amdhsa_forward_progress 0
		.amdhsa_shared_vgpr_count 0
		.amdhsa_exception_fp_ieee_invalid_op 0
		.amdhsa_exception_fp_denorm_src 0
		.amdhsa_exception_fp_ieee_div_zero 0
		.amdhsa_exception_fp_ieee_overflow 0
		.amdhsa_exception_fp_ieee_underflow 0
		.amdhsa_exception_fp_ieee_inexact 0
		.amdhsa_exception_int_div_zero 0
	.end_amdhsa_kernel
	.section	.text._ZN9rocsparseL14nnz_kernel_colILi256ElldEEv16rocsparse_order_T1_S2_PKT2_lPT0_,"axG",@progbits,_ZN9rocsparseL14nnz_kernel_colILi256ElldEEv16rocsparse_order_T1_S2_PKT2_lPT0_,comdat
.Lfunc_end31:
	.size	_ZN9rocsparseL14nnz_kernel_colILi256ElldEEv16rocsparse_order_T1_S2_PKT2_lPT0_, .Lfunc_end31-_ZN9rocsparseL14nnz_kernel_colILi256ElldEEv16rocsparse_order_T1_S2_PKT2_lPT0_
                                        ; -- End function
	.section	.AMDGPU.csdata,"",@progbits
; Kernel info:
; codeLenInByte = 1884
; NumSgprs: 20
; NumVgprs: 17
; ScratchSize: 0
; MemoryBound: 0
; FloatMode: 240
; IeeeMode: 1
; LDSByteSize: 2048 bytes/workgroup (compile time only)
; SGPRBlocks: 2
; VGPRBlocks: 2
; NumSGPRsForWavesPerEU: 20
; NumVGPRsForWavesPerEU: 17
; Occupancy: 16
; WaveLimiterHint : 0
; COMPUTE_PGM_RSRC2:SCRATCH_EN: 0
; COMPUTE_PGM_RSRC2:USER_SGPR: 15
; COMPUTE_PGM_RSRC2:TRAP_HANDLER: 0
; COMPUTE_PGM_RSRC2:TGID_X_EN: 1
; COMPUTE_PGM_RSRC2:TGID_Y_EN: 0
; COMPUTE_PGM_RSRC2:TGID_Z_EN: 0
; COMPUTE_PGM_RSRC2:TIDIG_COMP_CNT: 0
	.section	.text._ZN9rocsparseL14nnz_kernel_rowILi64ELi16Ell21rocsparse_complex_numIfEEEv16rocsparse_order_T2_S4_PKT3_lPT1_,"axG",@progbits,_ZN9rocsparseL14nnz_kernel_rowILi64ELi16Ell21rocsparse_complex_numIfEEEv16rocsparse_order_T2_S4_PKT3_lPT1_,comdat
	.globl	_ZN9rocsparseL14nnz_kernel_rowILi64ELi16Ell21rocsparse_complex_numIfEEEv16rocsparse_order_T2_S4_PKT3_lPT1_ ; -- Begin function _ZN9rocsparseL14nnz_kernel_rowILi64ELi16Ell21rocsparse_complex_numIfEEEv16rocsparse_order_T2_S4_PKT3_lPT1_
	.p2align	8
	.type	_ZN9rocsparseL14nnz_kernel_rowILi64ELi16Ell21rocsparse_complex_numIfEEEv16rocsparse_order_T2_S4_PKT3_lPT1_,@function
_ZN9rocsparseL14nnz_kernel_rowILi64ELi16Ell21rocsparse_complex_numIfEEEv16rocsparse_order_T2_S4_PKT3_lPT1_: ; @_ZN9rocsparseL14nnz_kernel_rowILi64ELi16Ell21rocsparse_complex_numIfEEEv16rocsparse_order_T2_S4_PKT3_lPT1_
; %bb.0:
	s_clause 0x2
	s_load_b32 s2, s[0:1], 0x3c
	s_load_b256 s[16:23], s[0:1], 0x8
	s_load_b64 s[6:7], s[0:1], 0x28
	s_mov_b32 s8, 0
	s_lshl_b32 s28, s15, 8
	s_mov_b32 s9, s8
	s_mov_b32 s10, s8
	;; [unrolled: 1-line block ×7, first 2 shown]
	v_and_b32_e32 v1, 0x3ff, v0
	v_bfe_u32 v0, v0, 10, 10
	s_load_b32 s29, s[0:1], 0x0
	s_mov_b32 s30, exec_lo
	s_waitcnt lgkmcnt(0)
	s_and_b32 s0, s2, 0xffff
	s_delay_alu instid0(SALU_CYCLE_1) | instskip(SKIP_1) | instid1(SALU_CYCLE_1)
	v_mad_u32_u24 v30, v0, s0, v1
	s_ashr_i32 s0, s19, 31
	s_lshr_b32 s0, s0, 26
	s_delay_alu instid0(SALU_CYCLE_1) | instskip(NEXT) | instid1(VALU_DEP_1)
	s_add_u32 s0, s18, s0
	v_lshrrev_b32_e32 v0, 4, v30
	v_and_b32_e32 v31, 63, v30
	v_mov_b32_e32 v19, 0
	s_addc_u32 s27, s19, 0
	s_and_b32 s26, s0, 0xffffffc0
	v_and_b32_e32 v16, 0x7ffffc, v0
	v_mov_b32_e32 v0, s8
	v_or_b32_e32 v18, s28, v31
	v_dual_mov_b32 v17, v19 :: v_dual_mov_b32 v4, s12
	v_dual_mov_b32 v1, s9 :: v_dual_mov_b32 v6, s14
	;; [unrolled: 1-line block ×3, first 2 shown]
	v_mov_b32_e32 v5, s13
	v_mov_b32_e32 v7, s15
	v_or_b32_e32 v24, 64, v18
	v_or_b32_e32 v22, 0x80, v18
	;; [unrolled: 1-line block ×3, first 2 shown]
	s_sub_u32 s24, s18, s26
	s_subb_u32 s25, s19, s27
	v_cmpx_gt_i64_e64 s[26:27], v[16:17]
	s_cbranch_execz .LBB32_28
; %bb.1:
	v_add_co_u32 v0, s0, s28, v31
	s_delay_alu instid0(VALU_DEP_1) | instskip(SKIP_1) | instid1(VALU_DEP_3)
	v_add_co_ci_u32_e64 v1, null, 0, 0, s0
	v_lshrrev_b32_e32 v11, 6, v30
	v_mul_lo_u32 v4, s23, v0
	v_mad_u64_u32 v[2:3], null, s22, v0, 0
	s_delay_alu instid0(VALU_DEP_4) | instskip(SKIP_3) | instid1(VALU_DEP_3)
	v_mul_lo_u32 v5, s22, v1
	v_add_co_u32 v6, vcc_lo, v0, 64
	v_add_co_ci_u32_e32 v7, vcc_lo, 0, v1, vcc_lo
	v_mov_b32_e32 v21, v19
	v_mul_lo_u32 v8, s23, v6
	v_add_co_u32 v9, vcc_lo, 0x80, v0
	v_add3_u32 v3, v3, v5, v4
	v_mul_lo_u32 v7, s22, v7
	v_mad_u64_u32 v[4:5], null, s22, v6, 0
	v_lshlrev_b32_e32 v13, 5, v11
	s_delay_alu instid0(VALU_DEP_4)
	v_lshlrev_b64 v[2:3], 3, v[2:3]
	v_mov_b32_e32 v23, v19
	v_add_co_ci_u32_e32 v6, vcc_lo, 0, v1, vcc_lo
	v_cmp_gt_i64_e64 s3, s[16:17], v[20:21]
	v_add3_u32 v5, v5, v7, v8
	v_add_co_u32 v21, vcc_lo, v2, v13
	v_cmp_gt_i64_e64 s2, s[16:17], v[22:23]
	v_mul_lo_u32 v8, s23, v9
	v_mul_lo_u32 v10, s22, v6
	v_mad_u64_u32 v[6:7], null, s22, v9, 0
	v_add_co_ci_u32_e32 v23, vcc_lo, 0, v3, vcc_lo
	v_add_co_u32 v9, vcc_lo, 0xc0, v0
	v_lshlrev_b64 v[2:3], 3, v[4:5]
	v_add_co_ci_u32_e32 v4, vcc_lo, 0, v1, vcc_lo
	v_lshlrev_b64 v[0:1], 3, v[0:1]
	v_mov_b32_e32 v25, v19
	v_add3_u32 v7, v7, v10, v8
	v_mul_lo_u32 v10, s23, v9
	v_or_b32_e32 v12, 24, v13
	v_mul_lo_u32 v14, s22, v4
	v_mad_u64_u32 v[4:5], null, s22, v9, 0
	v_cmp_gt_i64_e64 s1, s[16:17], v[24:25]
	s_delay_alu instid0(VALU_DEP_4)
	v_mad_u64_u32 v[25:26], null, s22, v12, v[0:1]
	v_add_co_u32 v32, vcc_lo, v2, v13
	v_add_co_ci_u32_e32 v33, vcc_lo, 0, v3, vcc_lo
	v_add3_u32 v5, v5, v14, v10
	v_or_b32_e32 v14, 16, v13
	v_lshlrev_b64 v[2:3], 3, v[6:7]
	v_mov_b32_e32 v6, v26
	v_mad_u64_u32 v[8:9], null, s22, v11, 0
	s_delay_alu instid0(VALU_DEP_4) | instskip(NEXT) | instid1(VALU_DEP_4)
	v_mad_u64_u32 v[26:27], null, s22, v14, v[0:1]
	v_add_co_u32 v34, vcc_lo, v2, v13
	v_add_co_ci_u32_e32 v35, vcc_lo, 0, v3, vcc_lo
	v_lshlrev_b64 v[2:3], 3, v[4:5]
	s_delay_alu instid0(VALU_DEP_4) | instskip(SKIP_3) | instid1(VALU_DEP_3)
	v_dual_mov_b32 v7, v9 :: v_dual_mov_b32 v4, v27
	v_or_b32_e32 v15, 8, v13
	v_cmp_gt_i64_e64 s0, s[16:17], v[18:19]
	s_cmp_lg_u32 s29, 1
	v_mad_u64_u32 v[9:10], null, s23, v11, v[7:8]
	s_delay_alu instid0(VALU_DEP_3) | instskip(SKIP_2) | instid1(VALU_DEP_3)
	v_mad_u64_u32 v[28:29], null, s22, v15, v[0:1]
	v_mad_u64_u32 v[10:11], null, s23, v12, v[6:7]
	v_add_co_u32 v27, vcc_lo, v2, v13
	v_mov_b32_e32 v5, v29
	v_add_co_ci_u32_e32 v29, vcc_lo, 0, v3, vcc_lo
	s_delay_alu instid0(VALU_DEP_4) | instskip(NEXT) | instid1(VALU_DEP_3)
	v_mov_b32_e32 v36, v10
	v_mad_u64_u32 v[6:7], null, s23, v14, v[4:5]
	s_delay_alu instid0(VALU_DEP_1) | instskip(SKIP_2) | instid1(VALU_DEP_2)
	v_mad_u64_u32 v[11:12], null, s23, v15, v[5:6]
	v_lshlrev_b64 v[4:5], 5, v[8:9]
	v_mov_b32_e32 v37, v6
	v_add_co_u32 v39, vcc_lo, v4, v0
	s_delay_alu instid0(VALU_DEP_3)
	v_add_co_ci_u32_e32 v40, vcc_lo, v5, v1, vcc_lo
	v_mov_b32_e32 v0, s8
	v_mov_b32_e32 v4, s12
	v_dual_mov_b32 v38, v11 :: v_dual_mov_b32 v1, s9
	v_mov_b32_e32 v6, s14
	v_dual_mov_b32 v2, s10 :: v_dual_mov_b32 v3, s11
	v_mov_b32_e32 v5, s13
	v_mov_b32_e32 v7, s15
	s_cselect_b32 s9, -1, 0
	s_lshl_b64 s[10:11], s[22:23], 9
	s_branch .LBB32_4
.LBB32_2:                               ;   in Loop: Header=BB32_4 Depth=1
	s_delay_alu instid0(VALU_DEP_1) | instskip(NEXT) | instid1(VALU_DEP_3)
	v_dual_mov_b32 v0, v8 :: v_dual_mov_b32 v1, v9
	v_dual_mov_b32 v2, v10 :: v_dual_mov_b32 v3, v11
	v_dual_mov_b32 v4, v12 :: v_dual_mov_b32 v5, v13
	v_dual_mov_b32 v6, v14 :: v_dual_mov_b32 v7, v15
.LBB32_3:                               ;   in Loop: Header=BB32_4 Depth=1
	s_or_b32 exec_lo, exec_lo, s12
	v_add_co_u32 v16, vcc_lo, v16, 64
	v_add_co_ci_u32_e32 v17, vcc_lo, 0, v17, vcc_lo
	v_add_co_u32 v21, vcc_lo, 0x200, v21
	v_add_co_ci_u32_e32 v23, vcc_lo, 0, v23, vcc_lo
	;; [unrolled: 2-line block ×8, first 2 shown]
	v_cmp_le_i64_e32 vcc_lo, s[26:27], v[16:17]
	v_add_co_u32 v39, s4, v39, s10
	s_delay_alu instid0(VALU_DEP_1) | instskip(SKIP_1) | instid1(SALU_CYCLE_1)
	v_add_co_ci_u32_e64 v40, s4, s11, v40, s4
	s_or_b32 s8, vcc_lo, s8
	s_and_not1_b32 exec_lo, exec_lo, s8
	s_cbranch_execz .LBB32_27
.LBB32_4:                               ; =>This Inner Loop Header: Depth=1
	s_and_saveexec_b32 s12, s0
	s_cbranch_execnz .LBB32_8
; %bb.5:                                ;   in Loop: Header=BB32_4 Depth=1
	s_or_b32 exec_lo, exec_lo, s12
	s_and_saveexec_b32 s12, s1
	s_cbranch_execnz .LBB32_13
.LBB32_6:                               ;   in Loop: Header=BB32_4 Depth=1
	s_or_b32 exec_lo, exec_lo, s12
	s_and_saveexec_b32 s12, s2
	s_cbranch_execnz .LBB32_18
.LBB32_7:                               ;   in Loop: Header=BB32_4 Depth=1
	s_or_b32 exec_lo, exec_lo, s12
	s_and_saveexec_b32 s12, s3
	s_cbranch_execz .LBB32_3
	s_branch .LBB32_23
.LBB32_8:                               ;   in Loop: Header=BB32_4 Depth=1
	s_and_not1_b32 vcc_lo, exec_lo, s9
	s_cbranch_vccnz .LBB32_10
; %bb.9:                                ;   in Loop: Header=BB32_4 Depth=1
	v_add_co_u32 v12, vcc_lo, s20, v21
	v_add_co_ci_u32_e32 v13, vcc_lo, s21, v23, vcc_lo
	s_clause 0x1
	global_load_b128 v[8:11], v[12:13], off
	global_load_b128 v[12:15], v[12:13], off offset:16
	s_waitcnt vmcnt(1)
	v_cmp_neq_f32_e32 vcc_lo, 0, v8
	v_cmp_neq_f32_e64 s4, 0, v9
	v_add_co_u32 v8, s5, v0, 1
	s_delay_alu instid0(VALU_DEP_1) | instskip(NEXT) | instid1(VALU_DEP_3)
	v_add_co_ci_u32_e64 v9, s5, 0, v1, s5
	s_or_b32 vcc_lo, vcc_lo, s4
	v_cmp_neq_f32_e64 s4, 0, v11
	s_delay_alu instid0(VALU_DEP_2) | instskip(SKIP_1) | instid1(VALU_DEP_2)
	v_dual_cndmask_b32 v8, v0, v8 :: v_dual_cndmask_b32 v9, v1, v9
	v_cmp_neq_f32_e32 vcc_lo, 0, v10
	v_add_co_u32 v10, s5, v8, 1
	s_delay_alu instid0(VALU_DEP_1) | instskip(SKIP_3) | instid1(VALU_DEP_2)
	v_add_co_ci_u32_e64 v11, s5, 0, v9, s5
	s_or_b32 vcc_lo, vcc_lo, s4
	s_waitcnt vmcnt(0)
	v_cmp_neq_f32_e64 s4, 0, v13
	v_dual_cndmask_b32 v8, v8, v10 :: v_dual_cndmask_b32 v9, v9, v11
	v_cmp_neq_f32_e32 vcc_lo, 0, v12
	v_mov_b32_e32 v13, v5
	s_delay_alu instid0(VALU_DEP_3) | instskip(NEXT) | instid1(VALU_DEP_1)
	v_add_co_u32 v11, s5, v8, 1
	v_add_co_ci_u32_e64 v12, s5, 0, v9, s5
	s_or_b32 vcc_lo, vcc_lo, s4
	v_mov_b32_e32 v10, v2
	s_delay_alu instid0(VALU_DEP_3) | instskip(NEXT) | instid1(VALU_DEP_3)
	v_dual_cndmask_b32 v8, v8, v11 :: v_dual_mov_b32 v11, v3
	v_cndmask_b32_e32 v9, v9, v12, vcc_lo
	v_cmp_neq_f32_e32 vcc_lo, 0, v14
	v_cmp_neq_f32_e64 s4, 0, v15
	s_delay_alu instid0(VALU_DEP_4) | instskip(NEXT) | instid1(VALU_DEP_1)
	v_add_co_u32 v15, s5, v8, 1
	v_add_co_ci_u32_e64 v41, s5, 0, v9, s5
	s_delay_alu instid0(VALU_DEP_3) | instskip(SKIP_1) | instid1(VALU_DEP_2)
	s_or_b32 vcc_lo, vcc_lo, s4
	v_mov_b32_e32 v12, v4
	v_dual_mov_b32 v14, v6 :: v_dual_cndmask_b32 v9, v9, v41
	v_dual_cndmask_b32 v8, v8, v15 :: v_dual_mov_b32 v15, v7
	s_cbranch_execz .LBB32_11
	s_branch .LBB32_12
.LBB32_10:                              ;   in Loop: Header=BB32_4 Depth=1
                                        ; implicit-def: $vgpr8_vgpr9_vgpr10_vgpr11_vgpr12_vgpr13_vgpr14_vgpr15
.LBB32_11:                              ;   in Loop: Header=BB32_4 Depth=1
	v_add_co_u32 v8, vcc_lo, s20, v39
	v_add_co_ci_u32_e32 v9, vcc_lo, s21, v40, vcc_lo
	v_add_co_u32 v10, vcc_lo, s20, v28
	v_add_co_ci_u32_e32 v11, vcc_lo, s21, v38, vcc_lo
	global_load_b64 v[8:9], v[8:9], off
	v_add_co_u32 v12, vcc_lo, s20, v26
	global_load_b64 v[10:11], v[10:11], off
	v_add_co_ci_u32_e32 v13, vcc_lo, s21, v37, vcc_lo
	v_add_co_u32 v14, vcc_lo, s20, v25
	v_add_co_ci_u32_e32 v15, vcc_lo, s21, v36, vcc_lo
	s_clause 0x1
	global_load_b64 v[12:13], v[12:13], off
	global_load_b64 v[14:15], v[14:15], off
	s_waitcnt vmcnt(3)
	v_cmp_neq_f32_e32 vcc_lo, 0, v8
	v_cmp_neq_f32_e64 s4, 0, v9
	v_add_co_u32 v8, s5, v0, 1
	s_delay_alu instid0(VALU_DEP_1) | instskip(NEXT) | instid1(VALU_DEP_3)
	v_add_co_ci_u32_e64 v9, s5, 0, v1, s5
	s_or_b32 vcc_lo, vcc_lo, s4
	s_waitcnt vmcnt(2)
	v_cmp_neq_f32_e64 s4, 0, v11
	s_delay_alu instid0(VALU_DEP_2) | instskip(SKIP_1) | instid1(VALU_DEP_2)
	v_dual_cndmask_b32 v0, v0, v8 :: v_dual_cndmask_b32 v1, v1, v9
	v_cmp_neq_f32_e32 vcc_lo, 0, v10
	v_add_co_u32 v8, s5, v0, 1
	s_delay_alu instid0(VALU_DEP_1) | instskip(SKIP_3) | instid1(VALU_DEP_2)
	v_add_co_ci_u32_e64 v9, s5, 0, v1, s5
	s_or_b32 vcc_lo, vcc_lo, s4
	s_waitcnt vmcnt(1)
	v_cmp_neq_f32_e64 s4, 0, v13
	v_dual_cndmask_b32 v0, v0, v8 :: v_dual_cndmask_b32 v1, v1, v9
	v_cmp_neq_f32_e32 vcc_lo, 0, v12
	s_delay_alu instid0(VALU_DEP_2) | instskip(NEXT) | instid1(VALU_DEP_1)
	v_add_co_u32 v8, s5, v0, 1
	v_add_co_ci_u32_e64 v9, s5, 0, v1, s5
	s_or_b32 vcc_lo, vcc_lo, s4
	s_waitcnt vmcnt(0)
	v_cmp_neq_f32_e64 s4, 0, v15
	s_delay_alu instid0(VALU_DEP_2) | instskip(SKIP_1) | instid1(VALU_DEP_2)
	v_dual_cndmask_b32 v0, v0, v8 :: v_dual_cndmask_b32 v1, v1, v9
	v_cmp_neq_f32_e32 vcc_lo, 0, v14
	v_add_co_u32 v8, s5, v0, 1
	s_delay_alu instid0(VALU_DEP_1) | instskip(SKIP_1) | instid1(VALU_DEP_1)
	v_add_co_ci_u32_e64 v9, s5, 0, v1, s5
	s_or_b32 vcc_lo, vcc_lo, s4
	v_dual_cndmask_b32 v0, v0, v8 :: v_dual_cndmask_b32 v1, v1, v9
	v_dual_mov_b32 v15, v7 :: v_dual_mov_b32 v14, v6
	v_dual_mov_b32 v13, v5 :: v_dual_mov_b32 v12, v4
	;; [unrolled: 1-line block ×3, first 2 shown]
	s_delay_alu instid0(VALU_DEP_4)
	v_dual_mov_b32 v9, v1 :: v_dual_mov_b32 v8, v0
.LBB32_12:                              ;   in Loop: Header=BB32_4 Depth=1
	s_delay_alu instid0(VALU_DEP_1) | instskip(NEXT) | instid1(VALU_DEP_3)
	v_dual_mov_b32 v0, v8 :: v_dual_mov_b32 v1, v9
	v_dual_mov_b32 v2, v10 :: v_dual_mov_b32 v3, v11
	;; [unrolled: 1-line block ×4, first 2 shown]
	s_or_b32 exec_lo, exec_lo, s12
	s_and_saveexec_b32 s12, s1
	s_cbranch_execz .LBB32_6
.LBB32_13:                              ;   in Loop: Header=BB32_4 Depth=1
	s_and_not1_b32 vcc_lo, exec_lo, s9
	s_cbranch_vccnz .LBB32_15
; %bb.14:                               ;   in Loop: Header=BB32_4 Depth=1
	v_add_co_u32 v12, vcc_lo, s20, v32
	v_add_co_ci_u32_e32 v13, vcc_lo, s21, v33, vcc_lo
	s_clause 0x1
	global_load_b128 v[8:11], v[12:13], off
	global_load_b128 v[12:15], v[12:13], off offset:16
	s_waitcnt vmcnt(1)
	v_cmp_neq_f32_e32 vcc_lo, 0, v8
	v_cmp_neq_f32_e64 s4, 0, v9
	v_add_co_u32 v8, s5, v2, 1
	s_delay_alu instid0(VALU_DEP_1) | instskip(NEXT) | instid1(VALU_DEP_3)
	v_add_co_ci_u32_e64 v9, s5, 0, v3, s5
	s_or_b32 vcc_lo, vcc_lo, s4
	v_cmp_neq_f32_e64 s4, 0, v11
	s_delay_alu instid0(VALU_DEP_2) | instskip(SKIP_1) | instid1(VALU_DEP_2)
	v_dual_cndmask_b32 v8, v2, v8 :: v_dual_cndmask_b32 v9, v3, v9
	v_cmp_neq_f32_e32 vcc_lo, 0, v10
	v_add_co_u32 v10, s5, v8, 1
	s_delay_alu instid0(VALU_DEP_1) | instskip(SKIP_3) | instid1(VALU_DEP_2)
	v_add_co_ci_u32_e64 v11, s5, 0, v9, s5
	s_or_b32 vcc_lo, vcc_lo, s4
	s_waitcnt vmcnt(0)
	v_cmp_neq_f32_e64 s4, 0, v13
	v_dual_cndmask_b32 v10, v8, v10 :: v_dual_cndmask_b32 v9, v9, v11
	v_cmp_neq_f32_e32 vcc_lo, 0, v12
	v_mov_b32_e32 v13, v5
	s_delay_alu instid0(VALU_DEP_3) | instskip(NEXT) | instid1(VALU_DEP_1)
	v_add_co_u32 v11, s5, v10, 1
	v_add_co_ci_u32_e64 v12, s5, 0, v9, s5
	s_or_b32 vcc_lo, vcc_lo, s4
	v_mov_b32_e32 v8, v0
	s_delay_alu instid0(VALU_DEP_2) | instskip(SKIP_3) | instid1(VALU_DEP_4)
	v_dual_cndmask_b32 v10, v10, v11 :: v_dual_cndmask_b32 v41, v9, v12
	v_mov_b32_e32 v9, v1
	v_cmp_neq_f32_e32 vcc_lo, 0, v14
	v_cmp_neq_f32_e64 s4, 0, v15
	v_add_co_u32 v15, s5, v10, 1
	s_delay_alu instid0(VALU_DEP_1) | instskip(NEXT) | instid1(VALU_DEP_3)
	v_add_co_ci_u32_e64 v11, s5, 0, v41, s5
	s_or_b32 vcc_lo, vcc_lo, s4
	v_mov_b32_e32 v12, v4
	s_delay_alu instid0(VALU_DEP_2)
	v_dual_mov_b32 v14, v6 :: v_dual_cndmask_b32 v11, v41, v11
	v_dual_cndmask_b32 v10, v10, v15 :: v_dual_mov_b32 v15, v7
	s_cbranch_execz .LBB32_16
	s_branch .LBB32_17
.LBB32_15:                              ;   in Loop: Header=BB32_4 Depth=1
                                        ; implicit-def: $vgpr8_vgpr9_vgpr10_vgpr11_vgpr12_vgpr13_vgpr14_vgpr15
.LBB32_16:                              ;   in Loop: Header=BB32_4 Depth=1
	v_add_co_u32 v8, vcc_lo, s20, v39
	v_add_co_ci_u32_e32 v9, vcc_lo, s21, v40, vcc_lo
	v_add_co_u32 v10, vcc_lo, s20, v28
	v_add_co_ci_u32_e32 v11, vcc_lo, s21, v38, vcc_lo
	global_load_b64 v[8:9], v[8:9], off offset:512
	v_add_co_u32 v12, vcc_lo, s20, v26
	global_load_b64 v[10:11], v[10:11], off offset:512
	v_add_co_ci_u32_e32 v13, vcc_lo, s21, v37, vcc_lo
	v_add_co_u32 v14, vcc_lo, s20, v25
	v_add_co_ci_u32_e32 v15, vcc_lo, s21, v36, vcc_lo
	s_clause 0x1
	global_load_b64 v[12:13], v[12:13], off offset:512
	global_load_b64 v[14:15], v[14:15], off offset:512
	s_waitcnt vmcnt(3)
	v_cmp_neq_f32_e32 vcc_lo, 0, v8
	v_cmp_neq_f32_e64 s4, 0, v9
	v_add_co_u32 v8, s5, v2, 1
	s_delay_alu instid0(VALU_DEP_1) | instskip(NEXT) | instid1(VALU_DEP_3)
	v_add_co_ci_u32_e64 v9, s5, 0, v3, s5
	s_or_b32 vcc_lo, vcc_lo, s4
	s_waitcnt vmcnt(2)
	v_cmp_neq_f32_e64 s4, 0, v11
	s_delay_alu instid0(VALU_DEP_2) | instskip(SKIP_1) | instid1(VALU_DEP_2)
	v_dual_cndmask_b32 v2, v2, v8 :: v_dual_cndmask_b32 v3, v3, v9
	v_cmp_neq_f32_e32 vcc_lo, 0, v10
	v_add_co_u32 v8, s5, v2, 1
	s_delay_alu instid0(VALU_DEP_1) | instskip(SKIP_3) | instid1(VALU_DEP_2)
	v_add_co_ci_u32_e64 v9, s5, 0, v3, s5
	s_or_b32 vcc_lo, vcc_lo, s4
	s_waitcnt vmcnt(1)
	v_cmp_neq_f32_e64 s4, 0, v13
	v_dual_cndmask_b32 v2, v2, v8 :: v_dual_cndmask_b32 v3, v3, v9
	v_cmp_neq_f32_e32 vcc_lo, 0, v12
	s_delay_alu instid0(VALU_DEP_2) | instskip(NEXT) | instid1(VALU_DEP_1)
	v_add_co_u32 v8, s5, v2, 1
	v_add_co_ci_u32_e64 v9, s5, 0, v3, s5
	s_or_b32 vcc_lo, vcc_lo, s4
	s_waitcnt vmcnt(0)
	v_cmp_neq_f32_e64 s4, 0, v15
	s_delay_alu instid0(VALU_DEP_2) | instskip(SKIP_1) | instid1(VALU_DEP_2)
	v_dual_cndmask_b32 v2, v2, v8 :: v_dual_cndmask_b32 v3, v3, v9
	v_cmp_neq_f32_e32 vcc_lo, 0, v14
	v_add_co_u32 v8, s5, v2, 1
	s_delay_alu instid0(VALU_DEP_1) | instskip(SKIP_1) | instid1(VALU_DEP_1)
	v_add_co_ci_u32_e64 v9, s5, 0, v3, s5
	s_or_b32 vcc_lo, vcc_lo, s4
	v_dual_cndmask_b32 v2, v2, v8 :: v_dual_cndmask_b32 v3, v3, v9
	v_dual_mov_b32 v15, v7 :: v_dual_mov_b32 v14, v6
	v_dual_mov_b32 v13, v5 :: v_dual_mov_b32 v12, v4
	s_delay_alu instid0(VALU_DEP_3)
	v_dual_mov_b32 v11, v3 :: v_dual_mov_b32 v10, v2
	v_dual_mov_b32 v9, v1 :: v_dual_mov_b32 v8, v0
.LBB32_17:                              ;   in Loop: Header=BB32_4 Depth=1
	s_delay_alu instid0(VALU_DEP_1) | instskip(NEXT) | instid1(VALU_DEP_2)
	v_dual_mov_b32 v0, v8 :: v_dual_mov_b32 v1, v9
	v_dual_mov_b32 v2, v10 :: v_dual_mov_b32 v3, v11
	;; [unrolled: 1-line block ×4, first 2 shown]
	s_or_b32 exec_lo, exec_lo, s12
	s_and_saveexec_b32 s12, s2
	s_cbranch_execz .LBB32_7
.LBB32_18:                              ;   in Loop: Header=BB32_4 Depth=1
	s_and_not1_b32 vcc_lo, exec_lo, s9
	s_cbranch_vccnz .LBB32_20
; %bb.19:                               ;   in Loop: Header=BB32_4 Depth=1
	v_add_co_u32 v12, vcc_lo, s20, v34
	v_add_co_ci_u32_e32 v13, vcc_lo, s21, v35, vcc_lo
	s_clause 0x1
	global_load_b128 v[8:11], v[12:13], off
	global_load_b128 v[12:15], v[12:13], off offset:16
	s_waitcnt vmcnt(1)
	v_cmp_neq_f32_e32 vcc_lo, 0, v8
	v_cmp_neq_f32_e64 s4, 0, v9
	v_add_co_u32 v8, s5, v4, 1
	s_delay_alu instid0(VALU_DEP_1) | instskip(NEXT) | instid1(VALU_DEP_3)
	v_add_co_ci_u32_e64 v9, s5, 0, v5, s5
	s_or_b32 vcc_lo, vcc_lo, s4
	v_cmp_neq_f32_e64 s4, 0, v11
	s_delay_alu instid0(VALU_DEP_2) | instskip(SKIP_1) | instid1(VALU_DEP_2)
	v_dual_cndmask_b32 v8, v4, v8 :: v_dual_cndmask_b32 v9, v5, v9
	v_cmp_neq_f32_e32 vcc_lo, 0, v10
	v_add_co_u32 v10, s5, v8, 1
	s_delay_alu instid0(VALU_DEP_1) | instskip(SKIP_3) | instid1(VALU_DEP_2)
	v_add_co_ci_u32_e64 v11, s5, 0, v9, s5
	s_or_b32 vcc_lo, vcc_lo, s4
	s_waitcnt vmcnt(0)
	v_cmp_neq_f32_e64 s4, 0, v13
	v_dual_cndmask_b32 v10, v8, v10 :: v_dual_cndmask_b32 v9, v9, v11
	v_cmp_neq_f32_e32 vcc_lo, 0, v12
	s_delay_alu instid0(VALU_DEP_2) | instskip(NEXT) | instid1(VALU_DEP_1)
	v_add_co_u32 v11, s5, v10, 1
	v_add_co_ci_u32_e64 v12, s5, 0, v9, s5
	s_or_b32 vcc_lo, vcc_lo, s4
	s_delay_alu instid0(VALU_DEP_2) | instskip(NEXT) | instid1(VALU_DEP_2)
	v_dual_mov_b32 v8, v0 :: v_dual_cndmask_b32 v41, v10, v11
	v_dual_cndmask_b32 v12, v9, v12 :: v_dual_mov_b32 v11, v3
	v_cmp_neq_f32_e32 vcc_lo, 0, v14
	v_cmp_neq_f32_e64 s4, 0, v15
	s_delay_alu instid0(VALU_DEP_4) | instskip(NEXT) | instid1(VALU_DEP_1)
	v_add_co_u32 v15, s5, v41, 1
	v_add_co_ci_u32_e64 v13, s5, 0, v12, s5
	s_delay_alu instid0(VALU_DEP_3) | instskip(SKIP_1) | instid1(VALU_DEP_2)
	s_or_b32 vcc_lo, vcc_lo, s4
	v_dual_mov_b32 v9, v1 :: v_dual_mov_b32 v10, v2
	v_dual_mov_b32 v14, v6 :: v_dual_cndmask_b32 v13, v12, v13
	v_dual_cndmask_b32 v12, v41, v15 :: v_dual_mov_b32 v15, v7
	s_cbranch_execz .LBB32_21
	s_branch .LBB32_22
.LBB32_20:                              ;   in Loop: Header=BB32_4 Depth=1
                                        ; implicit-def: $vgpr8_vgpr9_vgpr10_vgpr11_vgpr12_vgpr13_vgpr14_vgpr15
.LBB32_21:                              ;   in Loop: Header=BB32_4 Depth=1
	v_add_co_u32 v8, vcc_lo, s20, v39
	v_add_co_ci_u32_e32 v9, vcc_lo, s21, v40, vcc_lo
	v_add_co_u32 v10, vcc_lo, s20, v28
	v_add_co_ci_u32_e32 v11, vcc_lo, s21, v38, vcc_lo
	global_load_b64 v[8:9], v[8:9], off offset:1024
	v_add_co_u32 v12, vcc_lo, s20, v26
	global_load_b64 v[10:11], v[10:11], off offset:1024
	v_add_co_ci_u32_e32 v13, vcc_lo, s21, v37, vcc_lo
	v_add_co_u32 v14, vcc_lo, s20, v25
	v_add_co_ci_u32_e32 v15, vcc_lo, s21, v36, vcc_lo
	s_clause 0x1
	global_load_b64 v[12:13], v[12:13], off offset:1024
	global_load_b64 v[14:15], v[14:15], off offset:1024
	s_waitcnt vmcnt(3)
	v_cmp_neq_f32_e32 vcc_lo, 0, v8
	v_cmp_neq_f32_e64 s4, 0, v9
	v_add_co_u32 v8, s5, v4, 1
	s_delay_alu instid0(VALU_DEP_1) | instskip(NEXT) | instid1(VALU_DEP_3)
	v_add_co_ci_u32_e64 v9, s5, 0, v5, s5
	s_or_b32 vcc_lo, vcc_lo, s4
	s_waitcnt vmcnt(2)
	v_cmp_neq_f32_e64 s4, 0, v11
	s_delay_alu instid0(VALU_DEP_2) | instskip(SKIP_1) | instid1(VALU_DEP_2)
	v_dual_cndmask_b32 v4, v4, v8 :: v_dual_cndmask_b32 v5, v5, v9
	v_cmp_neq_f32_e32 vcc_lo, 0, v10
	v_add_co_u32 v8, s5, v4, 1
	s_delay_alu instid0(VALU_DEP_1) | instskip(SKIP_3) | instid1(VALU_DEP_2)
	v_add_co_ci_u32_e64 v9, s5, 0, v5, s5
	s_or_b32 vcc_lo, vcc_lo, s4
	s_waitcnt vmcnt(1)
	v_cmp_neq_f32_e64 s4, 0, v13
	v_dual_cndmask_b32 v4, v4, v8 :: v_dual_cndmask_b32 v5, v5, v9
	v_cmp_neq_f32_e32 vcc_lo, 0, v12
	s_delay_alu instid0(VALU_DEP_2) | instskip(NEXT) | instid1(VALU_DEP_1)
	v_add_co_u32 v8, s5, v4, 1
	v_add_co_ci_u32_e64 v9, s5, 0, v5, s5
	s_or_b32 vcc_lo, vcc_lo, s4
	s_waitcnt vmcnt(0)
	v_cmp_neq_f32_e64 s4, 0, v15
	s_delay_alu instid0(VALU_DEP_2) | instskip(SKIP_1) | instid1(VALU_DEP_2)
	v_dual_cndmask_b32 v4, v4, v8 :: v_dual_cndmask_b32 v5, v5, v9
	v_cmp_neq_f32_e32 vcc_lo, 0, v14
	v_add_co_u32 v8, s5, v4, 1
	s_delay_alu instid0(VALU_DEP_1) | instskip(SKIP_1) | instid1(VALU_DEP_1)
	v_add_co_ci_u32_e64 v9, s5, 0, v5, s5
	s_or_b32 vcc_lo, vcc_lo, s4
	v_dual_cndmask_b32 v4, v4, v8 :: v_dual_cndmask_b32 v5, v5, v9
	v_dual_mov_b32 v15, v7 :: v_dual_mov_b32 v14, v6
	v_dual_mov_b32 v11, v3 :: v_dual_mov_b32 v10, v2
	s_delay_alu instid0(VALU_DEP_3)
	v_dual_mov_b32 v13, v5 :: v_dual_mov_b32 v12, v4
	v_dual_mov_b32 v9, v1 :: v_dual_mov_b32 v8, v0
.LBB32_22:                              ;   in Loop: Header=BB32_4 Depth=1
	s_delay_alu instid0(VALU_DEP_1) | instskip(NEXT) | instid1(VALU_DEP_4)
	v_dual_mov_b32 v0, v8 :: v_dual_mov_b32 v1, v9
	v_dual_mov_b32 v2, v10 :: v_dual_mov_b32 v3, v11
	s_delay_alu instid0(VALU_DEP_3)
	v_dual_mov_b32 v4, v12 :: v_dual_mov_b32 v5, v13
	v_dual_mov_b32 v6, v14 :: v_dual_mov_b32 v7, v15
	s_or_b32 exec_lo, exec_lo, s12
	s_and_saveexec_b32 s12, s3
	s_cbranch_execz .LBB32_3
.LBB32_23:                              ;   in Loop: Header=BB32_4 Depth=1
	s_and_not1_b32 vcc_lo, exec_lo, s9
	s_cbranch_vccnz .LBB32_25
; %bb.24:                               ;   in Loop: Header=BB32_4 Depth=1
	v_add_co_u32 v12, vcc_lo, s20, v27
	v_add_co_ci_u32_e32 v13, vcc_lo, s21, v29, vcc_lo
	s_clause 0x1
	global_load_b128 v[8:11], v[12:13], off
	global_load_b128 v[12:15], v[12:13], off offset:16
	s_waitcnt vmcnt(1)
	v_cmp_neq_f32_e32 vcc_lo, 0, v8
	v_cmp_neq_f32_e64 s4, 0, v9
	v_add_co_u32 v8, s5, v6, 1
	s_delay_alu instid0(VALU_DEP_1) | instskip(NEXT) | instid1(VALU_DEP_3)
	v_add_co_ci_u32_e64 v9, s5, 0, v7, s5
	s_or_b32 vcc_lo, vcc_lo, s4
	v_cmp_neq_f32_e64 s4, 0, v11
	s_delay_alu instid0(VALU_DEP_2) | instskip(SKIP_1) | instid1(VALU_DEP_2)
	v_dual_cndmask_b32 v8, v6, v8 :: v_dual_cndmask_b32 v9, v7, v9
	v_cmp_neq_f32_e32 vcc_lo, 0, v10
	v_add_co_u32 v10, s5, v8, 1
	s_delay_alu instid0(VALU_DEP_1) | instskip(SKIP_3) | instid1(VALU_DEP_2)
	v_add_co_ci_u32_e64 v11, s5, 0, v9, s5
	s_or_b32 vcc_lo, vcc_lo, s4
	s_waitcnt vmcnt(0)
	v_cmp_neq_f32_e64 s4, 0, v13
	v_dual_cndmask_b32 v10, v8, v10 :: v_dual_cndmask_b32 v9, v9, v11
	v_cmp_neq_f32_e32 vcc_lo, 0, v12
	s_delay_alu instid0(VALU_DEP_2) | instskip(NEXT) | instid1(VALU_DEP_1)
	v_add_co_u32 v11, s5, v10, 1
	v_add_co_ci_u32_e64 v12, s5, 0, v9, s5
	s_or_b32 vcc_lo, vcc_lo, s4
	s_delay_alu instid0(VALU_DEP_2) | instskip(NEXT) | instid1(VALU_DEP_2)
	v_dual_mov_b32 v8, v0 :: v_dual_cndmask_b32 v41, v10, v11
	v_dual_cndmask_b32 v13, v9, v12 :: v_dual_mov_b32 v12, v4
	v_cmp_neq_f32_e32 vcc_lo, 0, v14
	v_cmp_neq_f32_e64 s4, 0, v15
	s_delay_alu instid0(VALU_DEP_4) | instskip(NEXT) | instid1(VALU_DEP_1)
	v_add_co_u32 v14, s5, v41, 1
	v_add_co_ci_u32_e64 v15, s5, 0, v13, s5
	s_delay_alu instid0(VALU_DEP_3) | instskip(SKIP_1) | instid1(VALU_DEP_3)
	s_or_b32 vcc_lo, vcc_lo, s4
	v_dual_mov_b32 v9, v1 :: v_dual_mov_b32 v10, v2
	v_dual_mov_b32 v11, v3 :: v_dual_cndmask_b32 v14, v41, v14
	s_delay_alu instid0(VALU_DEP_3)
	v_cndmask_b32_e32 v15, v13, v15, vcc_lo
	v_mov_b32_e32 v13, v5
	s_cbranch_execnz .LBB32_2
	s_branch .LBB32_26
.LBB32_25:                              ;   in Loop: Header=BB32_4 Depth=1
                                        ; implicit-def: $vgpr8_vgpr9_vgpr10_vgpr11_vgpr12_vgpr13_vgpr14_vgpr15
.LBB32_26:                              ;   in Loop: Header=BB32_4 Depth=1
	v_add_co_u32 v8, vcc_lo, s20, v39
	v_add_co_ci_u32_e32 v9, vcc_lo, s21, v40, vcc_lo
	v_add_co_u32 v10, vcc_lo, s20, v28
	v_add_co_ci_u32_e32 v11, vcc_lo, s21, v38, vcc_lo
	global_load_b64 v[8:9], v[8:9], off offset:1536
	v_add_co_u32 v12, vcc_lo, s20, v26
	global_load_b64 v[10:11], v[10:11], off offset:1536
	v_add_co_ci_u32_e32 v13, vcc_lo, s21, v37, vcc_lo
	v_add_co_u32 v14, vcc_lo, s20, v25
	v_add_co_ci_u32_e32 v15, vcc_lo, s21, v36, vcc_lo
	s_clause 0x1
	global_load_b64 v[12:13], v[12:13], off offset:1536
	global_load_b64 v[14:15], v[14:15], off offset:1536
	s_waitcnt vmcnt(3)
	v_cmp_neq_f32_e32 vcc_lo, 0, v8
	v_cmp_neq_f32_e64 s4, 0, v9
	v_add_co_u32 v8, s5, v6, 1
	s_delay_alu instid0(VALU_DEP_1) | instskip(NEXT) | instid1(VALU_DEP_3)
	v_add_co_ci_u32_e64 v9, s5, 0, v7, s5
	s_or_b32 vcc_lo, vcc_lo, s4
	s_waitcnt vmcnt(2)
	v_cmp_neq_f32_e64 s4, 0, v11
	s_delay_alu instid0(VALU_DEP_2) | instskip(SKIP_1) | instid1(VALU_DEP_2)
	v_dual_cndmask_b32 v6, v6, v8 :: v_dual_cndmask_b32 v7, v7, v9
	v_cmp_neq_f32_e32 vcc_lo, 0, v10
	v_add_co_u32 v8, s5, v6, 1
	s_delay_alu instid0(VALU_DEP_1) | instskip(SKIP_3) | instid1(VALU_DEP_2)
	v_add_co_ci_u32_e64 v9, s5, 0, v7, s5
	s_or_b32 vcc_lo, vcc_lo, s4
	s_waitcnt vmcnt(1)
	v_cmp_neq_f32_e64 s4, 0, v13
	v_dual_cndmask_b32 v6, v6, v8 :: v_dual_cndmask_b32 v7, v7, v9
	v_cmp_neq_f32_e32 vcc_lo, 0, v12
	s_delay_alu instid0(VALU_DEP_2) | instskip(NEXT) | instid1(VALU_DEP_1)
	v_add_co_u32 v8, s5, v6, 1
	v_add_co_ci_u32_e64 v9, s5, 0, v7, s5
	s_or_b32 vcc_lo, vcc_lo, s4
	s_waitcnt vmcnt(0)
	v_cmp_neq_f32_e64 s4, 0, v15
	s_delay_alu instid0(VALU_DEP_2) | instskip(SKIP_1) | instid1(VALU_DEP_2)
	v_dual_cndmask_b32 v6, v6, v8 :: v_dual_cndmask_b32 v7, v7, v9
	v_cmp_neq_f32_e32 vcc_lo, 0, v14
	v_add_co_u32 v8, s5, v6, 1
	s_delay_alu instid0(VALU_DEP_1) | instskip(SKIP_1) | instid1(VALU_DEP_1)
	v_add_co_ci_u32_e64 v9, s5, 0, v7, s5
	s_or_b32 vcc_lo, vcc_lo, s4
	v_dual_cndmask_b32 v6, v6, v8 :: v_dual_cndmask_b32 v7, v7, v9
	s_delay_alu instid0(VALU_DEP_1)
	v_dual_mov_b32 v15, v7 :: v_dual_mov_b32 v14, v6
	v_dual_mov_b32 v13, v5 :: v_dual_mov_b32 v12, v4
	;; [unrolled: 1-line block ×4, first 2 shown]
	s_branch .LBB32_2
.LBB32_27:
	s_or_b32 exec_lo, exec_lo, s8
.LBB32_28:
	s_delay_alu instid0(SALU_CYCLE_1) | instskip(SKIP_1) | instid1(VALU_DEP_1)
	s_or_b32 exec_lo, exec_lo, s30
	v_cmp_lt_i64_e64 s0, s[24:25], 1
	s_and_b32 vcc_lo, exec_lo, s0
	s_cbranch_vccnz .LBB32_126
; %bb.29:
	v_lshlrev_b64 v[8:9], 3, v[16:17]
	s_cmp_eq_u32 s29, 1
	s_mov_b32 s3, exec_lo
	s_cselect_b32 s2, -1, 0
	s_cmp_lg_u32 s29, 1
	s_cselect_b32 s1, -1, 0
	v_add_co_u32 v27, s0, s20, v8
	s_delay_alu instid0(VALU_DEP_1)
	v_add_co_ci_u32_e64 v28, s0, s21, v9, s0
	v_lshlrev_b64 v[8:9], 3, v[18:19]
	v_cmpx_gt_i64_e64 s[16:17], v[18:19]
	s_cbranch_execz .LBB32_53
; %bb.30:
	v_mad_u64_u32 v[10:11], null, v18, s22, 0
	s_mov_b32 s4, exec_lo
	s_delay_alu instid0(VALU_DEP_1) | instskip(NEXT) | instid1(VALU_DEP_1)
	v_mad_u64_u32 v[12:13], null, v18, s23, v[11:12]
	v_mov_b32_e32 v11, v12
	s_delay_alu instid0(VALU_DEP_1) | instskip(NEXT) | instid1(VALU_DEP_1)
	v_lshlrev_b64 v[10:11], 3, v[10:11]
	v_add_co_u32 v10, s0, v27, v10
	s_delay_alu instid0(VALU_DEP_1) | instskip(SKIP_1) | instid1(VALU_DEP_1)
	v_add_co_ci_u32_e64 v11, s0, v28, v11, s0
	v_add_co_u32 v18, s0, s20, v8
	v_add_co_ci_u32_e64 v21, s0, s21, v9, s0
	v_cmpx_gt_i64_e64 s[18:19], v[16:17]
	s_cbranch_execz .LBB32_34
; %bb.31:
	v_dual_mov_b32 v13, v11 :: v_dual_mov_b32 v12, v10
	s_and_not1_b32 vcc_lo, exec_lo, s2
	s_cbranch_vccnz .LBB32_33
; %bb.32:
	v_mul_lo_u32 v14, v17, s22
	v_mul_lo_u32 v15, v16, s23
	v_mad_u64_u32 v[12:13], null, v16, s22, 0
	s_delay_alu instid0(VALU_DEP_1) | instskip(NEXT) | instid1(VALU_DEP_1)
	v_add3_u32 v13, v13, v15, v14
	v_lshlrev_b64 v[12:13], 3, v[12:13]
	s_delay_alu instid0(VALU_DEP_1) | instskip(NEXT) | instid1(VALU_DEP_2)
	v_add_co_u32 v12, vcc_lo, v18, v12
	v_add_co_ci_u32_e32 v13, vcc_lo, v21, v13, vcc_lo
.LBB32_33:
	global_load_b64 v[12:13], v[12:13], off
	s_waitcnt vmcnt(0)
	v_cmp_neq_f32_e32 vcc_lo, 0, v12
	v_cmp_neq_f32_e64 s0, 0, v13
	s_delay_alu instid0(VALU_DEP_1) | instskip(NEXT) | instid1(SALU_CYCLE_1)
	s_or_b32 s0, vcc_lo, s0
	v_cndmask_b32_e64 v12, 0, 1, s0
	s_delay_alu instid0(VALU_DEP_1)
	v_add_co_u32 v0, vcc_lo, v0, v12
	v_add_co_ci_u32_e32 v1, vcc_lo, 0, v1, vcc_lo
.LBB32_34:
	s_or_b32 exec_lo, exec_lo, s4
	v_or_b32_e32 v12, 1, v16
	v_mov_b32_e32 v13, v17
	s_mov_b32 s4, exec_lo
	s_delay_alu instid0(VALU_DEP_1)
	v_cmpx_gt_i64_e64 s[18:19], v[12:13]
	s_cbranch_execz .LBB32_40
; %bb.35:
	s_and_not1_b32 vcc_lo, exec_lo, s1
	s_cbranch_vccnz .LBB32_37
; %bb.36:
	v_add_co_u32 v14, vcc_lo, v10, 8
	v_add_co_ci_u32_e32 v15, vcc_lo, 0, v11, vcc_lo
	v_add_co_u32 v25, vcc_lo, v10, 12
	v_add_co_ci_u32_e32 v26, vcc_lo, 0, v11, vcc_lo
	s_cbranch_execz .LBB32_38
	s_branch .LBB32_39
.LBB32_37:
                                        ; implicit-def: $vgpr14_vgpr15
                                        ; implicit-def: $vgpr25_vgpr26
.LBB32_38:
	v_mul_lo_u32 v15, v13, s22
	v_mul_lo_u32 v23, v12, s23
	v_mad_u64_u32 v[13:14], null, v12, s22, 0
	s_delay_alu instid0(VALU_DEP_1) | instskip(NEXT) | instid1(VALU_DEP_1)
	v_add3_u32 v14, v14, v23, v15
	v_lshlrev_b64 v[12:13], 3, v[13:14]
	s_delay_alu instid0(VALU_DEP_1) | instskip(NEXT) | instid1(VALU_DEP_2)
	v_add_co_u32 v14, vcc_lo, v18, v12
	v_add_co_ci_u32_e32 v15, vcc_lo, v21, v13, vcc_lo
	s_delay_alu instid0(VALU_DEP_2) | instskip(NEXT) | instid1(VALU_DEP_2)
	v_add_co_u32 v25, vcc_lo, v14, 4
	v_add_co_ci_u32_e32 v26, vcc_lo, 0, v15, vcc_lo
.LBB32_39:
	global_load_b32 v12, v[14:15], off
	global_load_b32 v13, v[25:26], off
	s_waitcnt vmcnt(1)
	v_cmp_neq_f32_e32 vcc_lo, 0, v12
	s_waitcnt vmcnt(0)
	v_cmp_neq_f32_e64 s0, 0, v13
	s_delay_alu instid0(VALU_DEP_1) | instskip(NEXT) | instid1(SALU_CYCLE_1)
	s_or_b32 s0, vcc_lo, s0
	v_cndmask_b32_e64 v12, 0, 1, s0
	s_delay_alu instid0(VALU_DEP_1)
	v_add_co_u32 v0, vcc_lo, v0, v12
	v_add_co_ci_u32_e32 v1, vcc_lo, 0, v1, vcc_lo
.LBB32_40:
	s_or_b32 exec_lo, exec_lo, s4
	v_or_b32_e32 v12, 2, v16
	v_mov_b32_e32 v13, v17
	s_mov_b32 s4, exec_lo
	s_delay_alu instid0(VALU_DEP_1)
	v_cmpx_gt_i64_e64 s[18:19], v[12:13]
	s_cbranch_execz .LBB32_46
; %bb.41:
	s_and_not1_b32 vcc_lo, exec_lo, s1
	s_cbranch_vccnz .LBB32_43
; %bb.42:
	v_add_co_u32 v14, vcc_lo, v10, 16
	v_add_co_ci_u32_e32 v15, vcc_lo, 0, v11, vcc_lo
	v_add_co_u32 v25, vcc_lo, v10, 20
	v_add_co_ci_u32_e32 v26, vcc_lo, 0, v11, vcc_lo
	s_cbranch_execz .LBB32_44
	s_branch .LBB32_45
.LBB32_43:
                                        ; implicit-def: $vgpr14_vgpr15
                                        ; implicit-def: $vgpr25_vgpr26
.LBB32_44:
	v_mul_lo_u32 v15, v13, s22
	v_mul_lo_u32 v23, v12, s23
	v_mad_u64_u32 v[13:14], null, v12, s22, 0
	s_delay_alu instid0(VALU_DEP_1) | instskip(NEXT) | instid1(VALU_DEP_1)
	v_add3_u32 v14, v14, v23, v15
	v_lshlrev_b64 v[12:13], 3, v[13:14]
	s_delay_alu instid0(VALU_DEP_1) | instskip(NEXT) | instid1(VALU_DEP_2)
	v_add_co_u32 v14, vcc_lo, v18, v12
	v_add_co_ci_u32_e32 v15, vcc_lo, v21, v13, vcc_lo
	s_delay_alu instid0(VALU_DEP_2) | instskip(NEXT) | instid1(VALU_DEP_2)
	v_add_co_u32 v25, vcc_lo, v14, 4
	v_add_co_ci_u32_e32 v26, vcc_lo, 0, v15, vcc_lo
.LBB32_45:
	global_load_b32 v12, v[14:15], off
	global_load_b32 v13, v[25:26], off
	s_waitcnt vmcnt(1)
	v_cmp_neq_f32_e32 vcc_lo, 0, v12
	s_waitcnt vmcnt(0)
	v_cmp_neq_f32_e64 s0, 0, v13
	s_delay_alu instid0(VALU_DEP_1) | instskip(NEXT) | instid1(SALU_CYCLE_1)
	s_or_b32 s0, vcc_lo, s0
	v_cndmask_b32_e64 v12, 0, 1, s0
	s_delay_alu instid0(VALU_DEP_1)
	v_add_co_u32 v0, vcc_lo, v0, v12
	v_add_co_ci_u32_e32 v1, vcc_lo, 0, v1, vcc_lo
.LBB32_46:
	s_or_b32 exec_lo, exec_lo, s4
	v_or_b32_e32 v12, 3, v16
	v_mov_b32_e32 v13, v17
	s_mov_b32 s4, exec_lo
	s_delay_alu instid0(VALU_DEP_1)
	v_cmpx_gt_i64_e64 s[18:19], v[12:13]
	s_cbranch_execz .LBB32_52
; %bb.47:
	s_and_not1_b32 vcc_lo, exec_lo, s1
	s_cbranch_vccnz .LBB32_49
; %bb.48:
	v_add_co_u32 v14, vcc_lo, v10, 24
	v_add_co_ci_u32_e32 v15, vcc_lo, 0, v11, vcc_lo
	v_add_co_u32 v10, vcc_lo, v10, 28
	v_add_co_ci_u32_e32 v11, vcc_lo, 0, v11, vcc_lo
	s_cbranch_execz .LBB32_50
	s_branch .LBB32_51
.LBB32_49:
                                        ; implicit-def: $vgpr14_vgpr15
                                        ; implicit-def: $vgpr10_vgpr11
.LBB32_50:
	v_mul_lo_u32 v13, v13, s22
	v_mul_lo_u32 v14, v12, s23
	v_mad_u64_u32 v[10:11], null, v12, s22, 0
	s_delay_alu instid0(VALU_DEP_1) | instskip(NEXT) | instid1(VALU_DEP_1)
	v_add3_u32 v11, v11, v14, v13
	v_lshlrev_b64 v[10:11], 3, v[10:11]
	s_delay_alu instid0(VALU_DEP_1) | instskip(NEXT) | instid1(VALU_DEP_2)
	v_add_co_u32 v14, vcc_lo, v18, v10
	v_add_co_ci_u32_e32 v15, vcc_lo, v21, v11, vcc_lo
	s_delay_alu instid0(VALU_DEP_2) | instskip(NEXT) | instid1(VALU_DEP_2)
	v_add_co_u32 v10, vcc_lo, v14, 4
	v_add_co_ci_u32_e32 v11, vcc_lo, 0, v15, vcc_lo
.LBB32_51:
	global_load_b32 v12, v[14:15], off
	global_load_b32 v10, v[10:11], off
	s_waitcnt vmcnt(1)
	v_cmp_neq_f32_e32 vcc_lo, 0, v12
	s_waitcnt vmcnt(0)
	v_cmp_neq_f32_e64 s0, 0, v10
	s_delay_alu instid0(VALU_DEP_1) | instskip(NEXT) | instid1(SALU_CYCLE_1)
	s_or_b32 s0, vcc_lo, s0
	v_cndmask_b32_e64 v10, 0, 1, s0
	s_delay_alu instid0(VALU_DEP_1)
	v_add_co_u32 v0, vcc_lo, v0, v10
	v_add_co_ci_u32_e32 v1, vcc_lo, 0, v1, vcc_lo
.LBB32_52:
	s_or_b32 exec_lo, exec_lo, s4
.LBB32_53:
	s_delay_alu instid0(SALU_CYCLE_1) | instskip(SKIP_2) | instid1(VALU_DEP_1)
	s_or_b32 exec_lo, exec_lo, s3
	v_mov_b32_e32 v25, v19
	s_mov_b32 s3, exec_lo
	v_cmpx_gt_i64_e64 s[16:17], v[24:25]
	s_cbranch_execz .LBB32_77
; %bb.54:
	v_mad_u64_u32 v[10:11], null, v24, s22, 0
	s_mov_b32 s4, exec_lo
	s_delay_alu instid0(VALU_DEP_1) | instskip(NEXT) | instid1(VALU_DEP_1)
	v_mad_u64_u32 v[12:13], null, v24, s23, v[11:12]
	v_mov_b32_e32 v11, v12
	s_delay_alu instid0(VALU_DEP_1) | instskip(NEXT) | instid1(VALU_DEP_1)
	v_lshlrev_b64 v[10:11], 3, v[10:11]
	v_add_co_u32 v10, s0, v27, v10
	s_delay_alu instid0(VALU_DEP_1) | instskip(SKIP_1) | instid1(VALU_DEP_1)
	v_add_co_ci_u32_e64 v11, s0, v28, v11, s0
	v_add_co_u32 v18, s0, s20, v8
	v_add_co_ci_u32_e64 v21, s0, s21, v9, s0
	v_cmpx_gt_i64_e64 s[18:19], v[16:17]
	s_cbranch_execz .LBB32_58
; %bb.55:
	v_dual_mov_b32 v13, v11 :: v_dual_mov_b32 v12, v10
	s_and_not1_b32 vcc_lo, exec_lo, s2
	s_cbranch_vccnz .LBB32_57
; %bb.56:
	v_mul_lo_u32 v14, v17, s22
	v_mul_lo_u32 v15, v16, s23
	v_mad_u64_u32 v[12:13], null, v16, s22, 0
	s_delay_alu instid0(VALU_DEP_1) | instskip(NEXT) | instid1(VALU_DEP_1)
	v_add3_u32 v13, v13, v15, v14
	v_lshlrev_b64 v[12:13], 3, v[12:13]
	s_delay_alu instid0(VALU_DEP_1) | instskip(NEXT) | instid1(VALU_DEP_2)
	v_add_co_u32 v12, vcc_lo, v18, v12
	v_add_co_ci_u32_e32 v13, vcc_lo, v21, v13, vcc_lo
	s_delay_alu instid0(VALU_DEP_2) | instskip(NEXT) | instid1(VALU_DEP_2)
	v_add_co_u32 v12, vcc_lo, 0x200, v12
	v_add_co_ci_u32_e32 v13, vcc_lo, 0, v13, vcc_lo
.LBB32_57:
	global_load_b64 v[12:13], v[12:13], off
	s_waitcnt vmcnt(0)
	v_cmp_neq_f32_e32 vcc_lo, 0, v12
	v_cmp_neq_f32_e64 s0, 0, v13
	s_delay_alu instid0(VALU_DEP_1) | instskip(NEXT) | instid1(SALU_CYCLE_1)
	s_or_b32 s0, vcc_lo, s0
	v_cndmask_b32_e64 v12, 0, 1, s0
	s_delay_alu instid0(VALU_DEP_1)
	v_add_co_u32 v2, vcc_lo, v2, v12
	v_add_co_ci_u32_e32 v3, vcc_lo, 0, v3, vcc_lo
.LBB32_58:
	s_or_b32 exec_lo, exec_lo, s4
	v_or_b32_e32 v12, 1, v16
	v_mov_b32_e32 v13, v17
	s_mov_b32 s4, exec_lo
	s_delay_alu instid0(VALU_DEP_1)
	v_cmpx_gt_i64_e64 s[18:19], v[12:13]
	s_cbranch_execz .LBB32_64
; %bb.59:
	s_and_not1_b32 vcc_lo, exec_lo, s1
	s_cbranch_vccnz .LBB32_61
; %bb.60:
	v_add_co_u32 v14, vcc_lo, v10, 8
	v_add_co_ci_u32_e32 v15, vcc_lo, 0, v11, vcc_lo
	v_add_co_u32 v23, vcc_lo, v10, 12
	v_add_co_ci_u32_e32 v24, vcc_lo, 0, v11, vcc_lo
	s_cbranch_execz .LBB32_62
	s_branch .LBB32_63
.LBB32_61:
                                        ; implicit-def: $vgpr14_vgpr15
                                        ; implicit-def: $vgpr23_vgpr24
.LBB32_62:
	v_mul_lo_u32 v15, v13, s22
	v_mul_lo_u32 v23, v12, s23
	v_mad_u64_u32 v[13:14], null, v12, s22, 0
	s_delay_alu instid0(VALU_DEP_1) | instskip(NEXT) | instid1(VALU_DEP_1)
	v_add3_u32 v14, v14, v23, v15
	v_lshlrev_b64 v[12:13], 3, v[13:14]
	s_delay_alu instid0(VALU_DEP_1) | instskip(NEXT) | instid1(VALU_DEP_2)
	v_add_co_u32 v12, vcc_lo, v18, v12
	v_add_co_ci_u32_e32 v13, vcc_lo, v21, v13, vcc_lo
	s_delay_alu instid0(VALU_DEP_2) | instskip(NEXT) | instid1(VALU_DEP_2)
	v_add_co_u32 v14, vcc_lo, 0x200, v12
	v_add_co_ci_u32_e32 v15, vcc_lo, 0, v13, vcc_lo
	v_add_co_u32 v23, vcc_lo, 0x204, v12
	v_add_co_ci_u32_e32 v24, vcc_lo, 0, v13, vcc_lo
.LBB32_63:
	global_load_b32 v12, v[14:15], off
	global_load_b32 v13, v[23:24], off
	s_waitcnt vmcnt(1)
	v_cmp_neq_f32_e32 vcc_lo, 0, v12
	s_waitcnt vmcnt(0)
	v_cmp_neq_f32_e64 s0, 0, v13
	s_delay_alu instid0(VALU_DEP_1) | instskip(NEXT) | instid1(SALU_CYCLE_1)
	s_or_b32 s0, vcc_lo, s0
	v_cndmask_b32_e64 v12, 0, 1, s0
	s_delay_alu instid0(VALU_DEP_1)
	v_add_co_u32 v2, vcc_lo, v2, v12
	v_add_co_ci_u32_e32 v3, vcc_lo, 0, v3, vcc_lo
.LBB32_64:
	s_or_b32 exec_lo, exec_lo, s4
	v_or_b32_e32 v12, 2, v16
	v_mov_b32_e32 v13, v17
	s_mov_b32 s4, exec_lo
	s_delay_alu instid0(VALU_DEP_1)
	v_cmpx_gt_i64_e64 s[18:19], v[12:13]
	s_cbranch_execz .LBB32_70
; %bb.65:
	s_and_not1_b32 vcc_lo, exec_lo, s1
	s_cbranch_vccnz .LBB32_67
; %bb.66:
	v_add_co_u32 v14, vcc_lo, v10, 16
	v_add_co_ci_u32_e32 v15, vcc_lo, 0, v11, vcc_lo
	v_add_co_u32 v23, vcc_lo, v10, 20
	v_add_co_ci_u32_e32 v24, vcc_lo, 0, v11, vcc_lo
	s_cbranch_execz .LBB32_68
	s_branch .LBB32_69
.LBB32_67:
                                        ; implicit-def: $vgpr14_vgpr15
                                        ; implicit-def: $vgpr23_vgpr24
.LBB32_68:
	v_mul_lo_u32 v15, v13, s22
	v_mul_lo_u32 v23, v12, s23
	v_mad_u64_u32 v[13:14], null, v12, s22, 0
	s_delay_alu instid0(VALU_DEP_1) | instskip(NEXT) | instid1(VALU_DEP_1)
	v_add3_u32 v14, v14, v23, v15
	v_lshlrev_b64 v[12:13], 3, v[13:14]
	s_delay_alu instid0(VALU_DEP_1) | instskip(NEXT) | instid1(VALU_DEP_2)
	v_add_co_u32 v12, vcc_lo, v18, v12
	v_add_co_ci_u32_e32 v13, vcc_lo, v21, v13, vcc_lo
	s_delay_alu instid0(VALU_DEP_2) | instskip(NEXT) | instid1(VALU_DEP_2)
	v_add_co_u32 v14, vcc_lo, 0x200, v12
	v_add_co_ci_u32_e32 v15, vcc_lo, 0, v13, vcc_lo
	v_add_co_u32 v23, vcc_lo, 0x204, v12
	v_add_co_ci_u32_e32 v24, vcc_lo, 0, v13, vcc_lo
.LBB32_69:
	global_load_b32 v12, v[14:15], off
	global_load_b32 v13, v[23:24], off
	s_waitcnt vmcnt(1)
	v_cmp_neq_f32_e32 vcc_lo, 0, v12
	s_waitcnt vmcnt(0)
	v_cmp_neq_f32_e64 s0, 0, v13
	s_delay_alu instid0(VALU_DEP_1) | instskip(NEXT) | instid1(SALU_CYCLE_1)
	s_or_b32 s0, vcc_lo, s0
	v_cndmask_b32_e64 v12, 0, 1, s0
	s_delay_alu instid0(VALU_DEP_1)
	v_add_co_u32 v2, vcc_lo, v2, v12
	v_add_co_ci_u32_e32 v3, vcc_lo, 0, v3, vcc_lo
.LBB32_70:
	s_or_b32 exec_lo, exec_lo, s4
	v_or_b32_e32 v12, 3, v16
	v_mov_b32_e32 v13, v17
	s_mov_b32 s4, exec_lo
	s_delay_alu instid0(VALU_DEP_1)
	v_cmpx_gt_i64_e64 s[18:19], v[12:13]
	s_cbranch_execz .LBB32_76
; %bb.71:
	s_and_not1_b32 vcc_lo, exec_lo, s1
	s_cbranch_vccnz .LBB32_73
; %bb.72:
	v_add_co_u32 v14, vcc_lo, v10, 24
	v_add_co_ci_u32_e32 v15, vcc_lo, 0, v11, vcc_lo
	v_add_co_u32 v10, vcc_lo, v10, 28
	v_add_co_ci_u32_e32 v11, vcc_lo, 0, v11, vcc_lo
	s_cbranch_execz .LBB32_74
	s_branch .LBB32_75
.LBB32_73:
                                        ; implicit-def: $vgpr14_vgpr15
                                        ; implicit-def: $vgpr10_vgpr11
.LBB32_74:
	v_mul_lo_u32 v13, v13, s22
	v_mul_lo_u32 v14, v12, s23
	v_mad_u64_u32 v[10:11], null, v12, s22, 0
	s_delay_alu instid0(VALU_DEP_1) | instskip(NEXT) | instid1(VALU_DEP_1)
	v_add3_u32 v11, v11, v14, v13
	v_lshlrev_b64 v[10:11], 3, v[10:11]
	s_delay_alu instid0(VALU_DEP_1) | instskip(NEXT) | instid1(VALU_DEP_2)
	v_add_co_u32 v10, vcc_lo, v18, v10
	v_add_co_ci_u32_e32 v11, vcc_lo, v21, v11, vcc_lo
	s_delay_alu instid0(VALU_DEP_2) | instskip(NEXT) | instid1(VALU_DEP_2)
	v_add_co_u32 v14, vcc_lo, 0x200, v10
	v_add_co_ci_u32_e32 v15, vcc_lo, 0, v11, vcc_lo
	v_add_co_u32 v10, vcc_lo, 0x204, v10
	v_add_co_ci_u32_e32 v11, vcc_lo, 0, v11, vcc_lo
.LBB32_75:
	global_load_b32 v12, v[14:15], off
	global_load_b32 v10, v[10:11], off
	s_waitcnt vmcnt(1)
	v_cmp_neq_f32_e32 vcc_lo, 0, v12
	s_waitcnt vmcnt(0)
	v_cmp_neq_f32_e64 s0, 0, v10
	s_delay_alu instid0(VALU_DEP_1) | instskip(NEXT) | instid1(SALU_CYCLE_1)
	s_or_b32 s0, vcc_lo, s0
	v_cndmask_b32_e64 v10, 0, 1, s0
	s_delay_alu instid0(VALU_DEP_1)
	v_add_co_u32 v2, vcc_lo, v2, v10
	v_add_co_ci_u32_e32 v3, vcc_lo, 0, v3, vcc_lo
.LBB32_76:
	s_or_b32 exec_lo, exec_lo, s4
.LBB32_77:
	s_delay_alu instid0(SALU_CYCLE_1) | instskip(SKIP_2) | instid1(VALU_DEP_1)
	s_or_b32 exec_lo, exec_lo, s3
	v_mov_b32_e32 v23, v19
	s_mov_b32 s3, exec_lo
	v_cmpx_gt_i64_e64 s[16:17], v[22:23]
	s_cbranch_execz .LBB32_101
; %bb.78:
	v_mad_u64_u32 v[10:11], null, v22, s22, 0
	s_mov_b32 s4, exec_lo
	s_delay_alu instid0(VALU_DEP_1) | instskip(NEXT) | instid1(VALU_DEP_1)
	v_mad_u64_u32 v[12:13], null, v22, s23, v[11:12]
	v_mov_b32_e32 v11, v12
	s_delay_alu instid0(VALU_DEP_1) | instskip(NEXT) | instid1(VALU_DEP_1)
	v_lshlrev_b64 v[10:11], 3, v[10:11]
	v_add_co_u32 v10, s0, v27, v10
	s_delay_alu instid0(VALU_DEP_1) | instskip(SKIP_1) | instid1(VALU_DEP_1)
	v_add_co_ci_u32_e64 v11, s0, v28, v11, s0
	v_add_co_u32 v18, s0, s20, v8
	v_add_co_ci_u32_e64 v23, s0, s21, v9, s0
	v_cmpx_gt_i64_e64 s[18:19], v[16:17]
	s_cbranch_execz .LBB32_82
; %bb.79:
	v_dual_mov_b32 v13, v11 :: v_dual_mov_b32 v12, v10
	s_and_not1_b32 vcc_lo, exec_lo, s2
	s_cbranch_vccnz .LBB32_81
; %bb.80:
	v_mul_lo_u32 v14, v17, s22
	v_mul_lo_u32 v15, v16, s23
	v_mad_u64_u32 v[12:13], null, v16, s22, 0
	s_delay_alu instid0(VALU_DEP_1) | instskip(NEXT) | instid1(VALU_DEP_1)
	v_add3_u32 v13, v13, v15, v14
	v_lshlrev_b64 v[12:13], 3, v[12:13]
	s_delay_alu instid0(VALU_DEP_1) | instskip(NEXT) | instid1(VALU_DEP_2)
	v_add_co_u32 v12, vcc_lo, v18, v12
	v_add_co_ci_u32_e32 v13, vcc_lo, v23, v13, vcc_lo
	s_delay_alu instid0(VALU_DEP_2) | instskip(NEXT) | instid1(VALU_DEP_2)
	v_add_co_u32 v12, vcc_lo, 0x400, v12
	v_add_co_ci_u32_e32 v13, vcc_lo, 0, v13, vcc_lo
.LBB32_81:
	global_load_b64 v[12:13], v[12:13], off
	s_waitcnt vmcnt(0)
	v_cmp_neq_f32_e32 vcc_lo, 0, v12
	v_cmp_neq_f32_e64 s0, 0, v13
	s_delay_alu instid0(VALU_DEP_1) | instskip(NEXT) | instid1(SALU_CYCLE_1)
	s_or_b32 s0, vcc_lo, s0
	v_cndmask_b32_e64 v12, 0, 1, s0
	s_delay_alu instid0(VALU_DEP_1)
	v_add_co_u32 v4, vcc_lo, v4, v12
	v_add_co_ci_u32_e32 v5, vcc_lo, 0, v5, vcc_lo
.LBB32_82:
	s_or_b32 exec_lo, exec_lo, s4
	v_or_b32_e32 v12, 1, v16
	v_mov_b32_e32 v13, v17
	s_mov_b32 s4, exec_lo
	s_delay_alu instid0(VALU_DEP_1)
	v_cmpx_gt_i64_e64 s[18:19], v[12:13]
	s_cbranch_execz .LBB32_88
; %bb.83:
	s_and_not1_b32 vcc_lo, exec_lo, s1
	s_cbranch_vccnz .LBB32_85
; %bb.84:
	v_add_co_u32 v14, vcc_lo, v10, 8
	v_add_co_ci_u32_e32 v15, vcc_lo, 0, v11, vcc_lo
	v_add_co_u32 v21, vcc_lo, v10, 12
	v_add_co_ci_u32_e32 v22, vcc_lo, 0, v11, vcc_lo
	s_cbranch_execz .LBB32_86
	s_branch .LBB32_87
.LBB32_85:
                                        ; implicit-def: $vgpr14_vgpr15
                                        ; implicit-def: $vgpr21_vgpr22
.LBB32_86:
	v_mul_lo_u32 v15, v13, s22
	v_mul_lo_u32 v21, v12, s23
	v_mad_u64_u32 v[13:14], null, v12, s22, 0
	s_delay_alu instid0(VALU_DEP_1) | instskip(NEXT) | instid1(VALU_DEP_1)
	v_add3_u32 v14, v14, v21, v15
	v_lshlrev_b64 v[12:13], 3, v[13:14]
	s_delay_alu instid0(VALU_DEP_1) | instskip(NEXT) | instid1(VALU_DEP_2)
	v_add_co_u32 v12, vcc_lo, v18, v12
	v_add_co_ci_u32_e32 v13, vcc_lo, v23, v13, vcc_lo
	s_delay_alu instid0(VALU_DEP_2) | instskip(NEXT) | instid1(VALU_DEP_2)
	v_add_co_u32 v14, vcc_lo, 0x400, v12
	v_add_co_ci_u32_e32 v15, vcc_lo, 0, v13, vcc_lo
	v_add_co_u32 v21, vcc_lo, 0x404, v12
	v_add_co_ci_u32_e32 v22, vcc_lo, 0, v13, vcc_lo
.LBB32_87:
	global_load_b32 v12, v[14:15], off
	global_load_b32 v13, v[21:22], off
	s_waitcnt vmcnt(1)
	v_cmp_neq_f32_e32 vcc_lo, 0, v12
	s_waitcnt vmcnt(0)
	v_cmp_neq_f32_e64 s0, 0, v13
	s_delay_alu instid0(VALU_DEP_1) | instskip(NEXT) | instid1(SALU_CYCLE_1)
	s_or_b32 s0, vcc_lo, s0
	v_cndmask_b32_e64 v12, 0, 1, s0
	s_delay_alu instid0(VALU_DEP_1)
	v_add_co_u32 v4, vcc_lo, v4, v12
	v_add_co_ci_u32_e32 v5, vcc_lo, 0, v5, vcc_lo
.LBB32_88:
	s_or_b32 exec_lo, exec_lo, s4
	v_or_b32_e32 v12, 2, v16
	v_mov_b32_e32 v13, v17
	s_mov_b32 s4, exec_lo
	s_delay_alu instid0(VALU_DEP_1)
	v_cmpx_gt_i64_e64 s[18:19], v[12:13]
	s_cbranch_execz .LBB32_94
; %bb.89:
	s_and_not1_b32 vcc_lo, exec_lo, s1
	s_cbranch_vccnz .LBB32_91
; %bb.90:
	v_add_co_u32 v14, vcc_lo, v10, 16
	v_add_co_ci_u32_e32 v15, vcc_lo, 0, v11, vcc_lo
	v_add_co_u32 v21, vcc_lo, v10, 20
	v_add_co_ci_u32_e32 v22, vcc_lo, 0, v11, vcc_lo
	s_cbranch_execz .LBB32_92
	s_branch .LBB32_93
.LBB32_91:
                                        ; implicit-def: $vgpr14_vgpr15
                                        ; implicit-def: $vgpr21_vgpr22
.LBB32_92:
	v_mul_lo_u32 v15, v13, s22
	v_mul_lo_u32 v21, v12, s23
	v_mad_u64_u32 v[13:14], null, v12, s22, 0
	s_delay_alu instid0(VALU_DEP_1) | instskip(NEXT) | instid1(VALU_DEP_1)
	v_add3_u32 v14, v14, v21, v15
	v_lshlrev_b64 v[12:13], 3, v[13:14]
	s_delay_alu instid0(VALU_DEP_1) | instskip(NEXT) | instid1(VALU_DEP_2)
	v_add_co_u32 v12, vcc_lo, v18, v12
	v_add_co_ci_u32_e32 v13, vcc_lo, v23, v13, vcc_lo
	s_delay_alu instid0(VALU_DEP_2) | instskip(NEXT) | instid1(VALU_DEP_2)
	v_add_co_u32 v14, vcc_lo, 0x400, v12
	v_add_co_ci_u32_e32 v15, vcc_lo, 0, v13, vcc_lo
	v_add_co_u32 v21, vcc_lo, 0x404, v12
	v_add_co_ci_u32_e32 v22, vcc_lo, 0, v13, vcc_lo
.LBB32_93:
	global_load_b32 v12, v[14:15], off
	global_load_b32 v13, v[21:22], off
	s_waitcnt vmcnt(1)
	v_cmp_neq_f32_e32 vcc_lo, 0, v12
	s_waitcnt vmcnt(0)
	v_cmp_neq_f32_e64 s0, 0, v13
	s_delay_alu instid0(VALU_DEP_1) | instskip(NEXT) | instid1(SALU_CYCLE_1)
	s_or_b32 s0, vcc_lo, s0
	v_cndmask_b32_e64 v12, 0, 1, s0
	s_delay_alu instid0(VALU_DEP_1)
	v_add_co_u32 v4, vcc_lo, v4, v12
	v_add_co_ci_u32_e32 v5, vcc_lo, 0, v5, vcc_lo
.LBB32_94:
	s_or_b32 exec_lo, exec_lo, s4
	v_or_b32_e32 v12, 3, v16
	v_mov_b32_e32 v13, v17
	s_mov_b32 s4, exec_lo
	s_delay_alu instid0(VALU_DEP_1)
	v_cmpx_gt_i64_e64 s[18:19], v[12:13]
	s_cbranch_execz .LBB32_100
; %bb.95:
	s_and_not1_b32 vcc_lo, exec_lo, s1
	s_cbranch_vccnz .LBB32_97
; %bb.96:
	v_add_co_u32 v14, vcc_lo, v10, 24
	v_add_co_ci_u32_e32 v15, vcc_lo, 0, v11, vcc_lo
	v_add_co_u32 v10, vcc_lo, v10, 28
	v_add_co_ci_u32_e32 v11, vcc_lo, 0, v11, vcc_lo
	s_cbranch_execz .LBB32_98
	s_branch .LBB32_99
.LBB32_97:
                                        ; implicit-def: $vgpr14_vgpr15
                                        ; implicit-def: $vgpr10_vgpr11
.LBB32_98:
	v_mul_lo_u32 v13, v13, s22
	v_mul_lo_u32 v14, v12, s23
	v_mad_u64_u32 v[10:11], null, v12, s22, 0
	s_delay_alu instid0(VALU_DEP_1) | instskip(NEXT) | instid1(VALU_DEP_1)
	v_add3_u32 v11, v11, v14, v13
	v_lshlrev_b64 v[10:11], 3, v[10:11]
	s_delay_alu instid0(VALU_DEP_1) | instskip(NEXT) | instid1(VALU_DEP_2)
	v_add_co_u32 v10, vcc_lo, v18, v10
	v_add_co_ci_u32_e32 v11, vcc_lo, v23, v11, vcc_lo
	s_delay_alu instid0(VALU_DEP_2) | instskip(NEXT) | instid1(VALU_DEP_2)
	v_add_co_u32 v14, vcc_lo, 0x400, v10
	v_add_co_ci_u32_e32 v15, vcc_lo, 0, v11, vcc_lo
	v_add_co_u32 v10, vcc_lo, 0x404, v10
	v_add_co_ci_u32_e32 v11, vcc_lo, 0, v11, vcc_lo
.LBB32_99:
	global_load_b32 v12, v[14:15], off
	global_load_b32 v10, v[10:11], off
	s_waitcnt vmcnt(1)
	v_cmp_neq_f32_e32 vcc_lo, 0, v12
	s_waitcnt vmcnt(0)
	v_cmp_neq_f32_e64 s0, 0, v10
	s_delay_alu instid0(VALU_DEP_1) | instskip(NEXT) | instid1(SALU_CYCLE_1)
	s_or_b32 s0, vcc_lo, s0
	v_cndmask_b32_e64 v10, 0, 1, s0
	s_delay_alu instid0(VALU_DEP_1)
	v_add_co_u32 v4, vcc_lo, v4, v10
	v_add_co_ci_u32_e32 v5, vcc_lo, 0, v5, vcc_lo
.LBB32_100:
	s_or_b32 exec_lo, exec_lo, s4
.LBB32_101:
	s_delay_alu instid0(SALU_CYCLE_1) | instskip(SKIP_2) | instid1(VALU_DEP_1)
	s_or_b32 exec_lo, exec_lo, s3
	v_mov_b32_e32 v21, v19
	s_mov_b32 s3, exec_lo
	v_cmpx_gt_i64_e64 s[16:17], v[20:21]
	s_cbranch_execz .LBB32_125
; %bb.102:
	v_mad_u64_u32 v[10:11], null, v20, s22, 0
	s_mov_b32 s4, exec_lo
	s_delay_alu instid0(VALU_DEP_1) | instskip(NEXT) | instid1(VALU_DEP_1)
	v_mad_u64_u32 v[12:13], null, v20, s23, v[11:12]
	v_mov_b32_e32 v11, v12
	s_delay_alu instid0(VALU_DEP_1) | instskip(NEXT) | instid1(VALU_DEP_1)
	v_lshlrev_b64 v[10:11], 3, v[10:11]
	v_add_co_u32 v10, s0, v27, v10
	s_delay_alu instid0(VALU_DEP_1) | instskip(SKIP_1) | instid1(VALU_DEP_1)
	v_add_co_ci_u32_e64 v11, s0, v28, v11, s0
	v_add_co_u32 v18, s0, s20, v8
	v_add_co_ci_u32_e64 v19, s0, s21, v9, s0
	v_cmpx_gt_i64_e64 s[18:19], v[16:17]
	s_cbranch_execz .LBB32_106
; %bb.103:
	v_dual_mov_b32 v8, v10 :: v_dual_mov_b32 v9, v11
	s_and_not1_b32 vcc_lo, exec_lo, s2
	s_cbranch_vccnz .LBB32_105
; %bb.104:
	v_mul_lo_u32 v12, v17, s22
	v_mul_lo_u32 v13, v16, s23
	v_mad_u64_u32 v[8:9], null, v16, s22, 0
	s_delay_alu instid0(VALU_DEP_1) | instskip(NEXT) | instid1(VALU_DEP_1)
	v_add3_u32 v9, v9, v13, v12
	v_lshlrev_b64 v[8:9], 3, v[8:9]
	s_delay_alu instid0(VALU_DEP_1) | instskip(NEXT) | instid1(VALU_DEP_2)
	v_add_co_u32 v8, vcc_lo, v18, v8
	v_add_co_ci_u32_e32 v9, vcc_lo, v19, v9, vcc_lo
	s_delay_alu instid0(VALU_DEP_2) | instskip(NEXT) | instid1(VALU_DEP_2)
	v_add_co_u32 v8, vcc_lo, 0x600, v8
	v_add_co_ci_u32_e32 v9, vcc_lo, 0, v9, vcc_lo
.LBB32_105:
	global_load_b64 v[8:9], v[8:9], off
	s_waitcnt vmcnt(0)
	v_cmp_neq_f32_e32 vcc_lo, 0, v8
	v_cmp_neq_f32_e64 s0, 0, v9
	s_delay_alu instid0(VALU_DEP_1) | instskip(NEXT) | instid1(SALU_CYCLE_1)
	s_or_b32 s0, vcc_lo, s0
	v_cndmask_b32_e64 v8, 0, 1, s0
	s_delay_alu instid0(VALU_DEP_1)
	v_add_co_u32 v6, vcc_lo, v6, v8
	v_add_co_ci_u32_e32 v7, vcc_lo, 0, v7, vcc_lo
.LBB32_106:
	s_or_b32 exec_lo, exec_lo, s4
	v_or_b32_e32 v8, 1, v16
	v_mov_b32_e32 v9, v17
	v_cndmask_b32_e64 v20, 0, 1, s1
	s_mov_b32 s2, exec_lo
	s_delay_alu instid0(VALU_DEP_2)
	v_cmpx_gt_i64_e64 s[18:19], v[8:9]
	s_cbranch_execz .LBB32_112
; %bb.107:
	s_and_not1_b32 vcc_lo, exec_lo, s1
	s_cbranch_vccnz .LBB32_109
; %bb.108:
	v_add_co_u32 v12, vcc_lo, v10, 8
	v_add_co_ci_u32_e32 v13, vcc_lo, 0, v11, vcc_lo
	v_add_co_u32 v14, vcc_lo, v10, 12
	v_add_co_ci_u32_e32 v15, vcc_lo, 0, v11, vcc_lo
	s_cbranch_execz .LBB32_110
	s_branch .LBB32_111
.LBB32_109:
                                        ; implicit-def: $vgpr12_vgpr13
                                        ; implicit-def: $vgpr14_vgpr15
.LBB32_110:
	v_mul_lo_u32 v9, v9, s22
	v_mul_lo_u32 v14, v8, s23
	v_mad_u64_u32 v[12:13], null, v8, s22, 0
	s_delay_alu instid0(VALU_DEP_1) | instskip(NEXT) | instid1(VALU_DEP_1)
	v_add3_u32 v13, v13, v14, v9
	v_lshlrev_b64 v[8:9], 3, v[12:13]
	s_delay_alu instid0(VALU_DEP_1) | instskip(NEXT) | instid1(VALU_DEP_2)
	v_add_co_u32 v8, vcc_lo, v18, v8
	v_add_co_ci_u32_e32 v9, vcc_lo, v19, v9, vcc_lo
	s_delay_alu instid0(VALU_DEP_2) | instskip(NEXT) | instid1(VALU_DEP_2)
	v_add_co_u32 v12, vcc_lo, 0x600, v8
	v_add_co_ci_u32_e32 v13, vcc_lo, 0, v9, vcc_lo
	v_add_co_u32 v14, vcc_lo, 0x604, v8
	v_add_co_ci_u32_e32 v15, vcc_lo, 0, v9, vcc_lo
.LBB32_111:
	global_load_b32 v8, v[12:13], off
	global_load_b32 v9, v[14:15], off
	s_waitcnt vmcnt(1)
	v_cmp_neq_f32_e32 vcc_lo, 0, v8
	s_waitcnt vmcnt(0)
	v_cmp_neq_f32_e64 s0, 0, v9
	s_delay_alu instid0(VALU_DEP_1) | instskip(NEXT) | instid1(SALU_CYCLE_1)
	s_or_b32 s0, vcc_lo, s0
	v_cndmask_b32_e64 v8, 0, 1, s0
	s_delay_alu instid0(VALU_DEP_1)
	v_add_co_u32 v6, vcc_lo, v6, v8
	v_add_co_ci_u32_e32 v7, vcc_lo, 0, v7, vcc_lo
.LBB32_112:
	s_or_b32 exec_lo, exec_lo, s2
	v_or_b32_e32 v8, 2, v16
	v_mov_b32_e32 v9, v17
	s_mov_b32 s1, exec_lo
	s_delay_alu instid0(VALU_DEP_1)
	v_cmpx_gt_i64_e64 s[18:19], v[8:9]
	s_cbranch_execz .LBB32_118
; %bb.113:
	v_cmp_ne_u32_e32 vcc_lo, 1, v20
	s_cbranch_vccnz .LBB32_115
; %bb.114:
	v_add_co_u32 v12, vcc_lo, v10, 16
	v_add_co_ci_u32_e32 v13, vcc_lo, 0, v11, vcc_lo
	v_add_co_u32 v14, vcc_lo, v10, 20
	v_add_co_ci_u32_e32 v15, vcc_lo, 0, v11, vcc_lo
	s_cbranch_execz .LBB32_116
	s_branch .LBB32_117
.LBB32_115:
                                        ; implicit-def: $vgpr12_vgpr13
                                        ; implicit-def: $vgpr14_vgpr15
.LBB32_116:
	v_mul_lo_u32 v9, v9, s22
	v_mul_lo_u32 v14, v8, s23
	v_mad_u64_u32 v[12:13], null, v8, s22, 0
	s_delay_alu instid0(VALU_DEP_1) | instskip(NEXT) | instid1(VALU_DEP_1)
	v_add3_u32 v13, v13, v14, v9
	v_lshlrev_b64 v[8:9], 3, v[12:13]
	s_delay_alu instid0(VALU_DEP_1) | instskip(NEXT) | instid1(VALU_DEP_2)
	v_add_co_u32 v8, vcc_lo, v18, v8
	v_add_co_ci_u32_e32 v9, vcc_lo, v19, v9, vcc_lo
	s_delay_alu instid0(VALU_DEP_2) | instskip(NEXT) | instid1(VALU_DEP_2)
	v_add_co_u32 v12, vcc_lo, 0x600, v8
	v_add_co_ci_u32_e32 v13, vcc_lo, 0, v9, vcc_lo
	v_add_co_u32 v14, vcc_lo, 0x604, v8
	v_add_co_ci_u32_e32 v15, vcc_lo, 0, v9, vcc_lo
.LBB32_117:
	global_load_b32 v8, v[12:13], off
	global_load_b32 v9, v[14:15], off
	s_waitcnt vmcnt(1)
	v_cmp_neq_f32_e32 vcc_lo, 0, v8
	s_waitcnt vmcnt(0)
	v_cmp_neq_f32_e64 s0, 0, v9
	s_delay_alu instid0(VALU_DEP_1) | instskip(NEXT) | instid1(SALU_CYCLE_1)
	s_or_b32 s0, vcc_lo, s0
	v_cndmask_b32_e64 v8, 0, 1, s0
	s_delay_alu instid0(VALU_DEP_1)
	v_add_co_u32 v6, vcc_lo, v6, v8
	v_add_co_ci_u32_e32 v7, vcc_lo, 0, v7, vcc_lo
.LBB32_118:
	s_or_b32 exec_lo, exec_lo, s1
	v_or_b32_e32 v16, 3, v16
	s_mov_b32 s1, exec_lo
	s_delay_alu instid0(VALU_DEP_1)
	v_cmpx_gt_i64_e64 s[18:19], v[16:17]
	s_cbranch_execz .LBB32_124
; %bb.119:
	v_cmp_ne_u32_e32 vcc_lo, 1, v20
	s_cbranch_vccnz .LBB32_121
; %bb.120:
	v_add_co_u32 v8, vcc_lo, v10, 24
	v_add_co_ci_u32_e32 v9, vcc_lo, 0, v11, vcc_lo
	v_add_co_u32 v10, vcc_lo, v10, 28
	v_add_co_ci_u32_e32 v11, vcc_lo, 0, v11, vcc_lo
	s_cbranch_execz .LBB32_122
	s_branch .LBB32_123
.LBB32_121:
                                        ; implicit-def: $vgpr8_vgpr9
                                        ; implicit-def: $vgpr10_vgpr11
.LBB32_122:
	v_mul_lo_u32 v10, v17, s22
	v_mul_lo_u32 v11, v16, s23
	v_mad_u64_u32 v[8:9], null, v16, s22, 0
	s_delay_alu instid0(VALU_DEP_1) | instskip(NEXT) | instid1(VALU_DEP_1)
	v_add3_u32 v9, v9, v11, v10
	v_lshlrev_b64 v[8:9], 3, v[8:9]
	s_delay_alu instid0(VALU_DEP_1) | instskip(NEXT) | instid1(VALU_DEP_2)
	v_add_co_u32 v10, vcc_lo, v18, v8
	v_add_co_ci_u32_e32 v11, vcc_lo, v19, v9, vcc_lo
	s_delay_alu instid0(VALU_DEP_2) | instskip(NEXT) | instid1(VALU_DEP_2)
	v_add_co_u32 v8, vcc_lo, 0x600, v10
	v_add_co_ci_u32_e32 v9, vcc_lo, 0, v11, vcc_lo
	v_add_co_u32 v10, vcc_lo, 0x604, v10
	v_add_co_ci_u32_e32 v11, vcc_lo, 0, v11, vcc_lo
.LBB32_123:
	global_load_b32 v8, v[8:9], off
	global_load_b32 v9, v[10:11], off
	s_waitcnt vmcnt(1)
	v_cmp_neq_f32_e32 vcc_lo, 0, v8
	s_waitcnt vmcnt(0)
	v_cmp_neq_f32_e64 s0, 0, v9
	s_delay_alu instid0(VALU_DEP_1) | instskip(NEXT) | instid1(SALU_CYCLE_1)
	s_or_b32 s0, vcc_lo, s0
	v_cndmask_b32_e64 v8, 0, 1, s0
	s_delay_alu instid0(VALU_DEP_1)
	v_add_co_u32 v6, vcc_lo, v6, v8
	v_add_co_ci_u32_e32 v7, vcc_lo, 0, v7, vcc_lo
.LBB32_124:
	s_or_b32 exec_lo, exec_lo, s1
.LBB32_125:
	s_delay_alu instid0(SALU_CYCLE_1)
	s_or_b32 exec_lo, exec_lo, s3
.LBB32_126:
	v_lshlrev_b32_e32 v8, 2, v30
	s_mov_b32 s0, exec_lo
	s_delay_alu instid0(VALU_DEP_1) | instskip(NEXT) | instid1(VALU_DEP_1)
	v_and_or_b32 v8, 0x1fffff00, v8, v31
	v_lshlrev_b32_e32 v8, 3, v8
	ds_store_2addr_stride64_b64 v8, v[0:1], v[2:3] offset1:1
	ds_store_2addr_stride64_b64 v8, v[4:5], v[6:7] offset0:2 offset1:3
	s_waitcnt lgkmcnt(0)
	s_barrier
	buffer_gl0_inv
	v_cmpx_gt_u32_e32 0x100, v30
	s_cbranch_execz .LBB32_129
; %bb.127:
	v_lshlrev_b32_e32 v12, 3, v30
	ds_load_2addr_stride64_b64 v[0:3], v12 offset1:4
	ds_load_2addr_stride64_b64 v[4:7], v12 offset0:8 offset1:12
	ds_load_2addr_stride64_b64 v[8:11], v12 offset0:16 offset1:20
	s_waitcnt lgkmcnt(2)
	v_add_co_u32 v13, vcc_lo, v0, v2
	v_add_co_ci_u32_e32 v14, vcc_lo, v1, v3, vcc_lo
	ds_load_2addr_stride64_b64 v[0:3], v12 offset0:24 offset1:28
	s_waitcnt lgkmcnt(2)
	v_add_co_u32 v4, vcc_lo, v13, v4
	v_add_co_ci_u32_e32 v5, vcc_lo, v14, v5, vcc_lo
	s_delay_alu instid0(VALU_DEP_2) | instskip(NEXT) | instid1(VALU_DEP_2)
	v_add_co_u32 v13, vcc_lo, v4, v6
	v_add_co_ci_u32_e32 v14, vcc_lo, v5, v7, vcc_lo
	ds_load_2addr_stride64_b64 v[4:7], v12 offset0:32 offset1:36
	s_waitcnt lgkmcnt(2)
	v_add_co_u32 v8, vcc_lo, v13, v8
	v_add_co_ci_u32_e32 v9, vcc_lo, v14, v9, vcc_lo
	s_delay_alu instid0(VALU_DEP_2) | instskip(NEXT) | instid1(VALU_DEP_2)
	;; [unrolled: 7-line block ×5, first 2 shown]
	v_add_co_u32 v8, vcc_lo, v8, v10
	v_add_co_ci_u32_e32 v9, vcc_lo, v9, v11, vcc_lo
	s_waitcnt lgkmcnt(1)
	s_delay_alu instid0(VALU_DEP_2) | instskip(NEXT) | instid1(VALU_DEP_2)
	v_add_co_u32 v0, vcc_lo, v8, v0
	v_add_co_ci_u32_e32 v1, vcc_lo, v9, v1, vcc_lo
	s_delay_alu instid0(VALU_DEP_2) | instskip(NEXT) | instid1(VALU_DEP_2)
	v_add_co_u32 v0, vcc_lo, v0, v2
	v_add_co_ci_u32_e32 v1, vcc_lo, v1, v3, vcc_lo
	v_add_co_u32 v2, s0, v30, s28
	s_waitcnt lgkmcnt(0)
	s_delay_alu instid0(VALU_DEP_3) | instskip(NEXT) | instid1(VALU_DEP_3)
	v_add_co_u32 v0, vcc_lo, v0, v4
	v_add_co_ci_u32_e32 v1, vcc_lo, v1, v5, vcc_lo
	v_add_co_ci_u32_e64 v3, null, 0, 0, s0
	s_delay_alu instid0(VALU_DEP_3) | instskip(NEXT) | instid1(VALU_DEP_3)
	v_add_co_u32 v0, vcc_lo, v0, v6
	v_add_co_ci_u32_e32 v1, vcc_lo, v1, v7, vcc_lo
	s_delay_alu instid0(VALU_DEP_3)
	v_cmp_gt_i64_e32 vcc_lo, s[16:17], v[2:3]
	ds_store_b64 v12, v[0:1]
	s_and_b32 exec_lo, exec_lo, vcc_lo
	s_cbranch_execz .LBB32_129
; %bb.128:
	v_lshlrev_b64 v[2:3], 3, v[2:3]
	s_delay_alu instid0(VALU_DEP_1) | instskip(NEXT) | instid1(VALU_DEP_2)
	v_add_co_u32 v2, vcc_lo, s6, v2
	v_add_co_ci_u32_e32 v3, vcc_lo, s7, v3, vcc_lo
	global_store_b64 v[2:3], v[0:1], off
.LBB32_129:
	s_nop 0
	s_sendmsg sendmsg(MSG_DEALLOC_VGPRS)
	s_endpgm
	.section	.rodata,"a",@progbits
	.p2align	6, 0x0
	.amdhsa_kernel _ZN9rocsparseL14nnz_kernel_rowILi64ELi16Ell21rocsparse_complex_numIfEEEv16rocsparse_order_T2_S4_PKT3_lPT1_
		.amdhsa_group_segment_fixed_size 32768
		.amdhsa_private_segment_fixed_size 0
		.amdhsa_kernarg_size 304
		.amdhsa_user_sgpr_count 15
		.amdhsa_user_sgpr_dispatch_ptr 0
		.amdhsa_user_sgpr_queue_ptr 0
		.amdhsa_user_sgpr_kernarg_segment_ptr 1
		.amdhsa_user_sgpr_dispatch_id 0
		.amdhsa_user_sgpr_private_segment_size 0
		.amdhsa_wavefront_size32 1
		.amdhsa_uses_dynamic_stack 0
		.amdhsa_enable_private_segment 0
		.amdhsa_system_sgpr_workgroup_id_x 1
		.amdhsa_system_sgpr_workgroup_id_y 0
		.amdhsa_system_sgpr_workgroup_id_z 0
		.amdhsa_system_sgpr_workgroup_info 0
		.amdhsa_system_vgpr_workitem_id 1
		.amdhsa_next_free_vgpr 42
		.amdhsa_next_free_sgpr 31
		.amdhsa_reserve_vcc 1
		.amdhsa_float_round_mode_32 0
		.amdhsa_float_round_mode_16_64 0
		.amdhsa_float_denorm_mode_32 3
		.amdhsa_float_denorm_mode_16_64 3
		.amdhsa_dx10_clamp 1
		.amdhsa_ieee_mode 1
		.amdhsa_fp16_overflow 0
		.amdhsa_workgroup_processor_mode 1
		.amdhsa_memory_ordered 1
		.amdhsa_forward_progress 0
		.amdhsa_shared_vgpr_count 0
		.amdhsa_exception_fp_ieee_invalid_op 0
		.amdhsa_exception_fp_denorm_src 0
		.amdhsa_exception_fp_ieee_div_zero 0
		.amdhsa_exception_fp_ieee_overflow 0
		.amdhsa_exception_fp_ieee_underflow 0
		.amdhsa_exception_fp_ieee_inexact 0
		.amdhsa_exception_int_div_zero 0
	.end_amdhsa_kernel
	.section	.text._ZN9rocsparseL14nnz_kernel_rowILi64ELi16Ell21rocsparse_complex_numIfEEEv16rocsparse_order_T2_S4_PKT3_lPT1_,"axG",@progbits,_ZN9rocsparseL14nnz_kernel_rowILi64ELi16Ell21rocsparse_complex_numIfEEEv16rocsparse_order_T2_S4_PKT3_lPT1_,comdat
.Lfunc_end32:
	.size	_ZN9rocsparseL14nnz_kernel_rowILi64ELi16Ell21rocsparse_complex_numIfEEEv16rocsparse_order_T2_S4_PKT3_lPT1_, .Lfunc_end32-_ZN9rocsparseL14nnz_kernel_rowILi64ELi16Ell21rocsparse_complex_numIfEEEv16rocsparse_order_T2_S4_PKT3_lPT1_
                                        ; -- End function
	.section	.AMDGPU.csdata,"",@progbits
; Kernel info:
; codeLenInByte = 7920
; NumSgprs: 33
; NumVgprs: 42
; ScratchSize: 0
; MemoryBound: 0
; FloatMode: 240
; IeeeMode: 1
; LDSByteSize: 32768 bytes/workgroup (compile time only)
; SGPRBlocks: 4
; VGPRBlocks: 5
; NumSGPRsForWavesPerEU: 33
; NumVGPRsForWavesPerEU: 42
; Occupancy: 16
; WaveLimiterHint : 0
; COMPUTE_PGM_RSRC2:SCRATCH_EN: 0
; COMPUTE_PGM_RSRC2:USER_SGPR: 15
; COMPUTE_PGM_RSRC2:TRAP_HANDLER: 0
; COMPUTE_PGM_RSRC2:TGID_X_EN: 1
; COMPUTE_PGM_RSRC2:TGID_Y_EN: 0
; COMPUTE_PGM_RSRC2:TGID_Z_EN: 0
; COMPUTE_PGM_RSRC2:TIDIG_COMP_CNT: 1
	.section	.text._ZN9rocsparseL14nnz_kernel_colILi256Ell21rocsparse_complex_numIfEEEv16rocsparse_order_T1_S4_PKT2_lPT0_,"axG",@progbits,_ZN9rocsparseL14nnz_kernel_colILi256Ell21rocsparse_complex_numIfEEEv16rocsparse_order_T1_S4_PKT2_lPT0_,comdat
	.globl	_ZN9rocsparseL14nnz_kernel_colILi256Ell21rocsparse_complex_numIfEEEv16rocsparse_order_T1_S4_PKT2_lPT0_ ; -- Begin function _ZN9rocsparseL14nnz_kernel_colILi256Ell21rocsparse_complex_numIfEEEv16rocsparse_order_T1_S4_PKT2_lPT0_
	.p2align	8
	.type	_ZN9rocsparseL14nnz_kernel_colILi256Ell21rocsparse_complex_numIfEEEv16rocsparse_order_T1_S4_PKT2_lPT0_,@function
_ZN9rocsparseL14nnz_kernel_colILi256Ell21rocsparse_complex_numIfEEEv16rocsparse_order_T1_S4_PKT2_lPT0_: ; @_ZN9rocsparseL14nnz_kernel_colILi256Ell21rocsparse_complex_numIfEEEv16rocsparse_order_T1_S4_PKT2_lPT0_
; %bb.0:
	s_clause 0x2
	s_load_b64 s[10:11], s[0:1], 0x8
	s_load_b32 s3, s[0:1], 0x0
	s_load_b128 s[4:7], s[0:1], 0x18
	v_mov_b32_e32 v1, 0
	s_mov_b32 s8, s15
	s_waitcnt lgkmcnt(0)
	s_ashr_i32 s2, s11, 31
	s_delay_alu instid0(SALU_CYCLE_1) | instskip(NEXT) | instid1(SALU_CYCLE_1)
	s_lshr_b32 s2, s2, 24
	s_add_u32 s9, s10, s2
	v_cmp_gt_i64_e64 s2, 0x100, s[10:11]
	s_addc_u32 s13, s11, 0
	s_and_b32 s12, s9, 0xffffff00
	s_cmp_eq_u32 s3, 1
	s_mov_b32 s9, 0
	s_cbranch_scc1 .LBB33_6
; %bb.1:
	v_mov_b32_e32 v2, 0
	v_mov_b32_e32 v3, 0
	s_and_b32 vcc_lo, exec_lo, s2
	s_cbranch_vccnz .LBB33_7
; %bb.2:
	v_mad_u64_u32 v[2:3], null, s6, v0, 0
	s_lshl_b64 s[2:3], s[8:9], 3
	s_mov_b64 s[16:17], 0
	s_add_u32 s2, s4, s2
	s_addc_u32 s3, s5, s3
	s_lshl_b64 s[14:15], s[6:7], 11
	s_delay_alu instid0(VALU_DEP_1) | instskip(NEXT) | instid1(VALU_DEP_1)
	v_mad_u64_u32 v[4:5], null, s7, v0, v[3:4]
	v_mov_b32_e32 v3, v4
	s_delay_alu instid0(VALU_DEP_1) | instskip(NEXT) | instid1(VALU_DEP_1)
	v_lshlrev_b64 v[2:3], 3, v[2:3]
	v_add_co_u32 v4, vcc_lo, s2, v2
	s_delay_alu instid0(VALU_DEP_2) | instskip(SKIP_1) | instid1(VALU_DEP_3)
	v_add_co_ci_u32_e32 v5, vcc_lo, s3, v3, vcc_lo
	v_mov_b32_e32 v2, 0
	v_add_co_u32 v4, vcc_lo, v4, 4
	v_mov_b32_e32 v3, 0
	s_delay_alu instid0(VALU_DEP_4)
	v_add_co_ci_u32_e32 v5, vcc_lo, 0, v5, vcc_lo
	s_set_inst_prefetch_distance 0x1
	s_branch .LBB33_4
	.p2align	6
.LBB33_3:                               ;   in Loop: Header=BB33_4 Depth=1
	s_or_b32 exec_lo, exec_lo, s3
	s_add_u32 s16, s16, 0x100
	s_addc_u32 s17, s17, 0
	v_add_co_u32 v4, vcc_lo, v4, s14
	v_cmp_ge_i64_e64 s2, s[16:17], s[12:13]
	v_add_co_ci_u32_e32 v5, vcc_lo, s15, v5, vcc_lo
	s_delay_alu instid0(VALU_DEP_2)
	s_and_b32 vcc_lo, exec_lo, s2
	s_cbranch_vccnz .LBB33_7
.LBB33_4:                               ; =>This Inner Loop Header: Depth=1
	v_add_co_u32 v6, s2, v0, s16
	s_delay_alu instid0(VALU_DEP_1) | instskip(SKIP_1) | instid1(VALU_DEP_1)
	v_add_co_ci_u32_e64 v7, null, 0, s17, s2
	s_mov_b32 s3, exec_lo
	v_cmpx_gt_i64_e64 s[10:11], v[6:7]
	s_cbranch_execz .LBB33_3
; %bb.5:                                ;   in Loop: Header=BB33_4 Depth=1
	global_load_b64 v[6:7], v[4:5], off offset:-4
	s_waitcnt vmcnt(0)
	v_cmp_neq_f32_e32 vcc_lo, 0, v6
	v_cmp_neq_f32_e64 s2, 0, v7
	s_delay_alu instid0(VALU_DEP_1) | instskip(NEXT) | instid1(SALU_CYCLE_1)
	s_or_b32 s2, vcc_lo, s2
	v_cndmask_b32_e64 v6, 0, 1, s2
	s_delay_alu instid0(VALU_DEP_1)
	v_add_co_u32 v2, vcc_lo, v2, v6
	v_add_co_ci_u32_e32 v3, vcc_lo, 0, v3, vcc_lo
	s_branch .LBB33_3
.LBB33_6:
	s_mov_b32 s16, s9
                                        ; implicit-def: $vgpr2_vgpr3
                                        ; implicit-def: $vgpr4_vgpr5
	s_cbranch_execnz .LBB33_10
	s_branch .LBB33_16
.LBB33_7:
	s_set_inst_prefetch_distance 0x2
	v_add_co_u32 v6, s2, s12, v0
	s_delay_alu instid0(VALU_DEP_1) | instskip(SKIP_3) | instid1(VALU_DEP_1)
	v_add_co_ci_u32_e64 v7, null, s13, 0, s2
	s_mov_b32 s2, 0
	s_mov_b32 s16, 0
	s_mov_b32 s3, exec_lo
                                        ; implicit-def: $vgpr4_vgpr5
	v_cmpx_gt_i64_e64 s[10:11], v[6:7]
	s_xor_b32 s3, exec_lo, s3
; %bb.8:
	v_mul_lo_u32 v7, v7, s6
	v_mul_lo_u32 v8, v6, s7
	v_mad_u64_u32 v[4:5], null, v6, s6, 0
	s_lshl_b64 s[14:15], s[8:9], 3
	s_mov_b32 s16, exec_lo
	s_add_u32 s14, s14, s4
	s_addc_u32 s15, s15, s5
	s_delay_alu instid0(VALU_DEP_1) | instskip(NEXT) | instid1(VALU_DEP_1)
	v_add3_u32 v5, v5, v8, v7
	v_lshlrev_b64 v[4:5], 3, v[4:5]
	s_delay_alu instid0(VALU_DEP_1) | instskip(NEXT) | instid1(VALU_DEP_2)
	v_add_co_u32 v4, vcc_lo, s14, v4
	v_add_co_ci_u32_e32 v5, vcc_lo, s15, v5, vcc_lo
; %bb.9:
	s_or_b32 exec_lo, exec_lo, s3
	s_delay_alu instid0(SALU_CYCLE_1)
	s_and_b32 vcc_lo, exec_lo, s2
	s_cbranch_vccz .LBB33_16
.LBB33_10:
	v_cmp_gt_i64_e32 vcc_lo, s[10:11], v[0:1]
	v_cmp_gt_i64_e64 s3, 0x100, s[10:11]
	s_mul_i32 s2, s8, s7
	s_mul_hi_u32 s7, s8, s6
	s_mul_i32 s6, s8, s6
	s_add_i32 s7, s7, s2
	v_dual_cndmask_b32 v1, 0, v0 :: v_dual_mov_b32 v2, 0
	v_mov_b32_e32 v3, 0
	s_and_b32 vcc_lo, exec_lo, s3
	s_delay_alu instid0(VALU_DEP_2)
	v_lshlrev_b32_e32 v1, 3, v1
	s_cbranch_vccnz .LBB33_13
; %bb.11:
	s_lshl_b64 s[2:3], s[6:7], 3
	v_mov_b32_e32 v2, 0
	s_add_u32 s2, s4, s2
	s_addc_u32 s3, s5, s3
	v_add_co_u32 v4, s2, s2, v1
	s_delay_alu instid0(VALU_DEP_1) | instskip(SKIP_1) | instid1(VALU_DEP_3)
	v_add_co_ci_u32_e64 v5, null, s3, 0, s2
	v_mov_b32_e32 v3, 0
	v_add_co_u32 v4, vcc_lo, v4, 4
	s_delay_alu instid0(VALU_DEP_3)
	v_add_co_ci_u32_e32 v5, vcc_lo, 0, v5, vcc_lo
	s_mov_b64 s[14:15], 0
	.p2align	6
.LBB33_12:                              ; =>This Inner Loop Header: Depth=1
	global_load_b64 v[6:7], v[4:5], off offset:-4
	v_add_co_u32 v4, vcc_lo, 0x800, v4
	v_add_co_ci_u32_e32 v5, vcc_lo, 0, v5, vcc_lo
	s_waitcnt vmcnt(0)
	v_cmp_neq_f32_e64 s2, 0, v6
	v_cmp_neq_f32_e64 s3, 0, v7
	s_delay_alu instid0(VALU_DEP_1) | instskip(SKIP_3) | instid1(SALU_CYCLE_1)
	s_or_b32 s2, s2, s3
	s_add_u32 s14, s14, 0x100
	v_cndmask_b32_e64 v6, 0, 1, s2
	s_addc_u32 s15, s15, 0
	v_cmp_ge_i64_e64 s3, s[14:15], s[12:13]
	s_delay_alu instid0(VALU_DEP_2) | instskip(SKIP_1) | instid1(VALU_DEP_3)
	v_add_co_u32 v2, vcc_lo, v2, v6
	v_add_co_ci_u32_e32 v3, vcc_lo, 0, v3, vcc_lo
	s_and_b32 vcc_lo, exec_lo, s3
	s_cbranch_vccz .LBB33_12
.LBB33_13:
	v_add_co_u32 v4, s2, s12, v0
	s_delay_alu instid0(VALU_DEP_1) | instskip(NEXT) | instid1(VALU_DEP_1)
	v_add_co_ci_u32_e64 v5, null, s13, 0, s2
	v_cmp_gt_i64_e32 vcc_lo, s[10:11], v[4:5]
                                        ; implicit-def: $vgpr4_vgpr5
	s_and_saveexec_b32 s2, vcc_lo
; %bb.14:
	s_lshl_b64 s[6:7], s[6:7], 3
	s_delay_alu instid0(SALU_CYCLE_1) | instskip(SKIP_2) | instid1(SALU_CYCLE_1)
	s_add_u32 s3, s4, s6
	s_addc_u32 s6, s5, s7
	s_lshl_b64 s[4:5], s[12:13], 3
	s_add_u32 s3, s4, s3
	s_addc_u32 s4, s5, s6
	v_add_co_u32 v4, s3, s3, v1
	s_delay_alu instid0(VALU_DEP_1)
	v_add_co_ci_u32_e64 v5, null, s4, 0, s3
	s_or_b32 s16, s16, exec_lo
; %bb.15:
	s_or_b32 exec_lo, exec_lo, s2
.LBB33_16:
	s_and_saveexec_b32 s3, s16
	s_cbranch_execz .LBB33_18
; %bb.17:
	global_load_b64 v[4:5], v[4:5], off
	s_waitcnt vmcnt(0)
	v_cmp_neq_f32_e32 vcc_lo, 0, v4
	v_cmp_neq_f32_e64 s2, 0, v5
	s_delay_alu instid0(VALU_DEP_1) | instskip(NEXT) | instid1(SALU_CYCLE_1)
	s_or_b32 s2, vcc_lo, s2
	v_cndmask_b32_e64 v1, 0, 1, s2
	s_delay_alu instid0(VALU_DEP_1)
	v_add_co_u32 v2, vcc_lo, v2, v1
	v_add_co_ci_u32_e32 v3, vcc_lo, 0, v3, vcc_lo
.LBB33_18:
	s_or_b32 exec_lo, exec_lo, s3
	v_cmp_gt_i64_e64 s2, 0x100, s[10:11]
	v_lshlrev_b32_e32 v4, 3, v0
	s_mov_b32 s3, -1
	ds_store_b64 v4, v[2:3]
	s_and_b32 vcc_lo, exec_lo, s2
	v_cmp_eq_u32_e64 s2, 0, v0
	s_waitcnt lgkmcnt(0)
	s_cbranch_vccz .LBB33_28
; %bb.19:
	v_cmp_gt_i64_e64 s3, s[10:11], 1
	s_mov_b64 s[4:5], 1
	s_barrier
	buffer_gl0_inv
	s_and_b32 s2, s2, s3
	s_delay_alu instid0(SALU_CYCLE_1)
	s_and_saveexec_b32 s5, s2
	s_cbranch_execz .LBB33_27
; %bb.20:
	v_mov_b32_e32 v1, 0
	s_add_u32 s12, s10, -1
	s_addc_u32 s3, s11, -1
	s_add_u32 s6, s10, -2
	s_addc_u32 s7, s11, -1
	ds_load_b64 v[1:2], v1
	v_cmp_lt_u64_e64 s2, s[6:7], 7
	s_delay_alu instid0(VALU_DEP_1)
	s_and_b32 vcc_lo, exec_lo, s2
	s_cbranch_vccnz .LBB33_23
; %bb.21:
	s_and_b32 s2, s12, -8
	s_mov_b64 s[6:7], 0
	s_mov_b32 s10, 8
	s_set_inst_prefetch_distance 0x1
	.p2align	6
.LBB33_22:                              ; =>This Inner Loop Header: Depth=1
	v_mov_b32_e32 v3, s10
	s_add_u32 s14, s6, 8
	s_addc_u32 s15, s7, 0
	s_add_i32 s10, s10, 64
	s_add_u32 s4, s6, 9
	ds_load_2addr_b64 v[5:8], v3 offset1:1
	ds_load_2addr_b64 v[9:12], v3 offset0:2 offset1:3
	ds_load_2addr_b64 v[13:16], v3 offset0:4 offset1:5
	s_cmp_lg_u64 s[2:3], s[14:15]
	s_mov_b64 s[6:7], s[14:15]
	s_waitcnt lgkmcnt(2)
	v_add_co_u32 v1, vcc_lo, v1, v5
	v_add_co_ci_u32_e32 v2, vcc_lo, v2, v6, vcc_lo
	s_delay_alu instid0(VALU_DEP_2) | instskip(NEXT) | instid1(VALU_DEP_2)
	v_add_co_u32 v1, vcc_lo, v1, v7
	v_add_co_ci_u32_e32 v2, vcc_lo, v2, v8, vcc_lo
	ds_load_2addr_b64 v[5:8], v3 offset0:6 offset1:7
	s_waitcnt lgkmcnt(2)
	v_add_co_u32 v1, vcc_lo, v1, v9
	v_add_co_ci_u32_e32 v2, vcc_lo, v2, v10, vcc_lo
	s_delay_alu instid0(VALU_DEP_2) | instskip(NEXT) | instid1(VALU_DEP_2)
	v_add_co_u32 v1, vcc_lo, v1, v11
	v_add_co_ci_u32_e32 v2, vcc_lo, v2, v12, vcc_lo
	s_waitcnt lgkmcnt(1)
	s_delay_alu instid0(VALU_DEP_2) | instskip(NEXT) | instid1(VALU_DEP_2)
	v_add_co_u32 v1, vcc_lo, v1, v13
	v_add_co_ci_u32_e32 v2, vcc_lo, v2, v14, vcc_lo
	s_delay_alu instid0(VALU_DEP_2) | instskip(NEXT) | instid1(VALU_DEP_2)
	v_add_co_u32 v1, vcc_lo, v1, v15
	v_add_co_ci_u32_e32 v2, vcc_lo, v2, v16, vcc_lo
	s_waitcnt lgkmcnt(0)
	s_delay_alu instid0(VALU_DEP_2) | instskip(NEXT) | instid1(VALU_DEP_2)
	v_add_co_u32 v1, vcc_lo, v1, v5
	v_add_co_ci_u32_e32 v2, vcc_lo, v2, v6, vcc_lo
	s_delay_alu instid0(VALU_DEP_2) | instskip(NEXT) | instid1(VALU_DEP_2)
	v_add_co_u32 v1, vcc_lo, v1, v7
	v_add_co_ci_u32_e32 v2, vcc_lo, v2, v8, vcc_lo
	s_cbranch_scc1 .LBB33_22
.LBB33_23:
	s_set_inst_prefetch_distance 0x2
	s_and_b32 s2, s12, 7
	s_mov_b32 s3, 0
	s_delay_alu instid0(SALU_CYCLE_1)
	s_cmp_eq_u64 s[2:3], 0
	s_cbranch_scc1 .LBB33_26
; %bb.24:
	s_lshl_b32 s4, s4, 3
.LBB33_25:                              ; =>This Inner Loop Header: Depth=1
	s_delay_alu instid0(SALU_CYCLE_1) | instskip(SKIP_3) | instid1(SALU_CYCLE_1)
	v_mov_b32_e32 v3, s4
	s_add_i32 s4, s4, 8
	s_add_u32 s2, s2, -1
	s_addc_u32 s3, s3, -1
	s_cmp_lg_u64 s[2:3], 0
	ds_load_b64 v[5:6], v3
	s_waitcnt lgkmcnt(0)
	v_add_co_u32 v1, vcc_lo, v1, v5
	v_add_co_ci_u32_e32 v2, vcc_lo, v2, v6, vcc_lo
	s_cbranch_scc1 .LBB33_25
.LBB33_26:
	v_mov_b32_e32 v3, 0
	s_waitcnt lgkmcnt(0)
	ds_store_b64 v3, v[1:2]
.LBB33_27:
	s_or_b32 exec_lo, exec_lo, s5
	s_mov_b32 s3, 0
	s_waitcnt lgkmcnt(0)
	s_barrier
.LBB33_28:
	s_and_b32 vcc_lo, exec_lo, s3
	s_cbranch_vccz .LBB33_46
; %bb.29:
	s_mov_b32 s2, exec_lo
	s_barrier
	buffer_gl0_inv
	v_cmpx_gt_u32_e32 0x80, v0
	s_cbranch_execz .LBB33_31
; %bb.30:
	ds_load_2addr_stride64_b64 v[5:8], v4 offset1:2
	s_waitcnt lgkmcnt(0)
	v_add_co_u32 v1, vcc_lo, v5, v7
	v_add_co_ci_u32_e32 v2, vcc_lo, v6, v8, vcc_lo
	ds_store_b64 v4, v[1:2]
.LBB33_31:
	s_or_b32 exec_lo, exec_lo, s2
	s_delay_alu instid0(SALU_CYCLE_1)
	s_mov_b32 s2, exec_lo
	s_waitcnt lgkmcnt(0)
	s_barrier
	buffer_gl0_inv
	v_cmpx_gt_u32_e32 64, v0
	s_cbranch_execz .LBB33_33
; %bb.32:
	ds_load_2addr_stride64_b64 v[5:8], v4 offset1:1
	s_waitcnt lgkmcnt(0)
	v_add_co_u32 v1, vcc_lo, v5, v7
	v_add_co_ci_u32_e32 v2, vcc_lo, v6, v8, vcc_lo
	ds_store_b64 v4, v[1:2]
.LBB33_33:
	s_or_b32 exec_lo, exec_lo, s2
	s_delay_alu instid0(SALU_CYCLE_1)
	s_mov_b32 s2, exec_lo
	s_waitcnt lgkmcnt(0)
	s_barrier
	buffer_gl0_inv
	v_cmpx_gt_u32_e32 32, v0
	s_cbranch_execz .LBB33_35
; %bb.34:
	ds_load_2addr_b64 v[5:8], v4 offset1:32
	s_waitcnt lgkmcnt(0)
	v_add_co_u32 v1, vcc_lo, v5, v7
	v_add_co_ci_u32_e32 v2, vcc_lo, v6, v8, vcc_lo
	ds_store_b64 v4, v[1:2]
.LBB33_35:
	s_or_b32 exec_lo, exec_lo, s2
	s_delay_alu instid0(SALU_CYCLE_1)
	s_mov_b32 s2, exec_lo
	s_waitcnt lgkmcnt(0)
	s_barrier
	buffer_gl0_inv
	v_cmpx_gt_u32_e32 16, v0
	s_cbranch_execz .LBB33_37
; %bb.36:
	ds_load_2addr_b64 v[5:8], v4 offset1:16
	s_waitcnt lgkmcnt(0)
	v_add_co_u32 v1, vcc_lo, v5, v7
	v_add_co_ci_u32_e32 v2, vcc_lo, v6, v8, vcc_lo
	ds_store_b64 v4, v[1:2]
.LBB33_37:
	;; [unrolled: 15-line block ×5, first 2 shown]
	s_or_b32 exec_lo, exec_lo, s2
	s_delay_alu instid0(SALU_CYCLE_1)
	s_mov_b32 s2, exec_lo
	s_waitcnt lgkmcnt(0)
	s_barrier
	buffer_gl0_inv
	v_cmpx_eq_u32_e32 0, v0
	s_cbranch_execz .LBB33_45
; %bb.44:
	v_mov_b32_e32 v5, 0
	ds_load_b128 v[1:4], v5
	s_waitcnt lgkmcnt(0)
	v_add_co_u32 v1, vcc_lo, v1, v3
	v_add_co_ci_u32_e32 v2, vcc_lo, v2, v4, vcc_lo
	ds_store_b64 v5, v[1:2]
.LBB33_45:
	s_or_b32 exec_lo, exec_lo, s2
	s_waitcnt lgkmcnt(0)
	s_barrier
.LBB33_46:
	buffer_gl0_inv
	s_mov_b32 s2, exec_lo
	v_cmpx_eq_u32_e32 0, v0
	s_cbranch_execz .LBB33_48
; %bb.47:
	v_mov_b32_e32 v2, 0
	s_load_b64 s[0:1], s[0:1], 0x28
	s_lshl_b64 s[2:3], s[8:9], 3
	ds_load_b64 v[0:1], v2
	s_waitcnt lgkmcnt(0)
	s_add_u32 s0, s0, s2
	s_addc_u32 s1, s1, s3
	global_store_b64 v2, v[0:1], s[0:1]
.LBB33_48:
	s_nop 0
	s_sendmsg sendmsg(MSG_DEALLOC_VGPRS)
	s_endpgm
	.section	.rodata,"a",@progbits
	.p2align	6, 0x0
	.amdhsa_kernel _ZN9rocsparseL14nnz_kernel_colILi256Ell21rocsparse_complex_numIfEEEv16rocsparse_order_T1_S4_PKT2_lPT0_
		.amdhsa_group_segment_fixed_size 2048
		.amdhsa_private_segment_fixed_size 0
		.amdhsa_kernarg_size 48
		.amdhsa_user_sgpr_count 15
		.amdhsa_user_sgpr_dispatch_ptr 0
		.amdhsa_user_sgpr_queue_ptr 0
		.amdhsa_user_sgpr_kernarg_segment_ptr 1
		.amdhsa_user_sgpr_dispatch_id 0
		.amdhsa_user_sgpr_private_segment_size 0
		.amdhsa_wavefront_size32 1
		.amdhsa_uses_dynamic_stack 0
		.amdhsa_enable_private_segment 0
		.amdhsa_system_sgpr_workgroup_id_x 1
		.amdhsa_system_sgpr_workgroup_id_y 0
		.amdhsa_system_sgpr_workgroup_id_z 0
		.amdhsa_system_sgpr_workgroup_info 0
		.amdhsa_system_vgpr_workitem_id 0
		.amdhsa_next_free_vgpr 17
		.amdhsa_next_free_sgpr 18
		.amdhsa_reserve_vcc 1
		.amdhsa_float_round_mode_32 0
		.amdhsa_float_round_mode_16_64 0
		.amdhsa_float_denorm_mode_32 3
		.amdhsa_float_denorm_mode_16_64 3
		.amdhsa_dx10_clamp 1
		.amdhsa_ieee_mode 1
		.amdhsa_fp16_overflow 0
		.amdhsa_workgroup_processor_mode 1
		.amdhsa_memory_ordered 1
		.amdhsa_forward_progress 0
		.amdhsa_shared_vgpr_count 0
		.amdhsa_exception_fp_ieee_invalid_op 0
		.amdhsa_exception_fp_denorm_src 0
		.amdhsa_exception_fp_ieee_div_zero 0
		.amdhsa_exception_fp_ieee_overflow 0
		.amdhsa_exception_fp_ieee_underflow 0
		.amdhsa_exception_fp_ieee_inexact 0
		.amdhsa_exception_int_div_zero 0
	.end_amdhsa_kernel
	.section	.text._ZN9rocsparseL14nnz_kernel_colILi256Ell21rocsparse_complex_numIfEEEv16rocsparse_order_T1_S4_PKT2_lPT0_,"axG",@progbits,_ZN9rocsparseL14nnz_kernel_colILi256Ell21rocsparse_complex_numIfEEEv16rocsparse_order_T1_S4_PKT2_lPT0_,comdat
.Lfunc_end33:
	.size	_ZN9rocsparseL14nnz_kernel_colILi256Ell21rocsparse_complex_numIfEEEv16rocsparse_order_T1_S4_PKT2_lPT0_, .Lfunc_end33-_ZN9rocsparseL14nnz_kernel_colILi256Ell21rocsparse_complex_numIfEEEv16rocsparse_order_T1_S4_PKT2_lPT0_
                                        ; -- End function
	.section	.AMDGPU.csdata,"",@progbits
; Kernel info:
; codeLenInByte = 1984
; NumSgprs: 20
; NumVgprs: 17
; ScratchSize: 0
; MemoryBound: 0
; FloatMode: 240
; IeeeMode: 1
; LDSByteSize: 2048 bytes/workgroup (compile time only)
; SGPRBlocks: 2
; VGPRBlocks: 2
; NumSGPRsForWavesPerEU: 20
; NumVGPRsForWavesPerEU: 17
; Occupancy: 16
; WaveLimiterHint : 0
; COMPUTE_PGM_RSRC2:SCRATCH_EN: 0
; COMPUTE_PGM_RSRC2:USER_SGPR: 15
; COMPUTE_PGM_RSRC2:TRAP_HANDLER: 0
; COMPUTE_PGM_RSRC2:TGID_X_EN: 1
; COMPUTE_PGM_RSRC2:TGID_Y_EN: 0
; COMPUTE_PGM_RSRC2:TGID_Z_EN: 0
; COMPUTE_PGM_RSRC2:TIDIG_COMP_CNT: 0
	.section	.text._ZN9rocsparseL14nnz_kernel_rowILi64ELi16Ell21rocsparse_complex_numIdEEEv16rocsparse_order_T2_S4_PKT3_lPT1_,"axG",@progbits,_ZN9rocsparseL14nnz_kernel_rowILi64ELi16Ell21rocsparse_complex_numIdEEEv16rocsparse_order_T2_S4_PKT3_lPT1_,comdat
	.globl	_ZN9rocsparseL14nnz_kernel_rowILi64ELi16Ell21rocsparse_complex_numIdEEEv16rocsparse_order_T2_S4_PKT3_lPT1_ ; -- Begin function _ZN9rocsparseL14nnz_kernel_rowILi64ELi16Ell21rocsparse_complex_numIdEEEv16rocsparse_order_T2_S4_PKT3_lPT1_
	.p2align	8
	.type	_ZN9rocsparseL14nnz_kernel_rowILi64ELi16Ell21rocsparse_complex_numIdEEEv16rocsparse_order_T2_S4_PKT3_lPT1_,@function
_ZN9rocsparseL14nnz_kernel_rowILi64ELi16Ell21rocsparse_complex_numIdEEEv16rocsparse_order_T2_S4_PKT3_lPT1_: ; @_ZN9rocsparseL14nnz_kernel_rowILi64ELi16Ell21rocsparse_complex_numIdEEEv16rocsparse_order_T2_S4_PKT3_lPT1_
; %bb.0:
	s_clause 0x2
	s_load_b32 s2, s[0:1], 0x3c
	s_load_b256 s[16:23], s[0:1], 0x8
	s_load_b64 s[12:13], s[0:1], 0x28
	s_mov_b32 s24, 0
	s_load_b32 s33, s[0:1], 0x0
	s_mov_b32 s25, s24
	s_mov_b32 s26, s24
	;; [unrolled: 1-line block ×7, first 2 shown]
	v_and_b32_e32 v1, 0x3ff, v0
	v_bfe_u32 v0, v0, 10, 10
	s_lshl_b32 s11, s15, 8
	s_mov_b32 s36, exec_lo
	s_waitcnt lgkmcnt(0)
	s_and_b32 s0, s2, 0xffff
	s_delay_alu instid0(SALU_CYCLE_1) | instskip(SKIP_1) | instid1(SALU_CYCLE_1)
	v_mad_u32_u24 v30, v0, s0, v1
	s_ashr_i32 s0, s19, 31
	s_lshr_b32 s0, s0, 26
	s_delay_alu instid0(SALU_CYCLE_1) | instskip(NEXT) | instid1(VALU_DEP_1)
	s_add_u32 s0, s18, s0
	v_lshrrev_b32_e32 v0, 4, v30
	v_and_b32_e32 v31, 63, v30
	v_mov_b32_e32 v19, 0
	s_addc_u32 s35, s19, 0
	s_and_b32 s34, s0, 0xffffffc0
	v_and_b32_e32 v16, 0x7ffffc, v0
	v_mov_b32_e32 v0, s24
	v_or_b32_e32 v18, s11, v31
	v_dual_mov_b32 v17, v19 :: v_dual_mov_b32 v4, s28
	v_dual_mov_b32 v1, s25 :: v_dual_mov_b32 v6, s30
	;; [unrolled: 1-line block ×3, first 2 shown]
	v_mov_b32_e32 v5, s29
	v_mov_b32_e32 v7, s31
	v_or_b32_e32 v24, 64, v18
	v_or_b32_e32 v22, 0x80, v18
	;; [unrolled: 1-line block ×3, first 2 shown]
	s_sub_u32 s14, s18, s34
	s_subb_u32 s15, s19, s35
	v_cmpx_gt_i64_e64 s[34:35], v[16:17]
	s_cbranch_execz .LBB34_28
; %bb.1:
	v_add_co_u32 v0, s0, s11, v31
	s_delay_alu instid0(VALU_DEP_1) | instskip(SKIP_1) | instid1(VALU_DEP_3)
	v_add_co_ci_u32_e64 v1, null, 0, 0, s0
	v_mov_b32_e32 v21, v19
	v_mul_lo_u32 v4, s23, v0
	v_mad_u64_u32 v[2:3], null, s22, v0, 0
	s_delay_alu instid0(VALU_DEP_4) | instskip(SKIP_3) | instid1(VALU_DEP_3)
	v_mul_lo_u32 v5, s22, v1
	v_add_co_u32 v6, vcc_lo, v0, 64
	v_add_co_ci_u32_e32 v7, vcc_lo, 0, v1, vcc_lo
	v_add_co_u32 v9, vcc_lo, 0x80, v0
	v_mul_lo_u32 v8, s23, v6
	v_add3_u32 v3, v3, v5, v4
	s_delay_alu instid0(VALU_DEP_4) | instskip(SKIP_2) | instid1(VALU_DEP_4)
	v_mul_lo_u32 v7, s22, v7
	v_mad_u64_u32 v[4:5], null, s22, v6, 0
	v_and_b32_e32 v13, 0x7ffffc0, v30
	v_lshlrev_b64 v[2:3], 4, v[2:3]
	v_mov_b32_e32 v23, v19
	v_add_co_ci_u32_e32 v6, vcc_lo, 0, v1, vcc_lo
	v_cmp_gt_i64_e64 s3, s[16:17], v[20:21]
	v_add3_u32 v5, v5, v7, v8
	v_add_co_u32 v21, vcc_lo, v2, v13
	v_cmp_gt_i64_e64 s2, s[16:17], v[22:23]
	v_mul_lo_u32 v8, s23, v9
	v_mul_lo_u32 v10, s22, v6
	v_mad_u64_u32 v[6:7], null, s22, v9, 0
	v_add_co_ci_u32_e32 v23, vcc_lo, 0, v3, vcc_lo
	v_add_co_u32 v9, vcc_lo, 0xc0, v0
	v_lshlrev_b64 v[2:3], 4, v[4:5]
	v_add_co_ci_u32_e32 v4, vcc_lo, 0, v1, vcc_lo
	v_lshlrev_b64 v[0:1], 4, v[0:1]
	v_mov_b32_e32 v25, v19
	v_add3_u32 v7, v7, v10, v8
	v_mul_lo_u32 v10, s23, v9
	v_or_b32_e32 v12, 48, v13
	v_mul_lo_u32 v14, s22, v4
	v_mad_u64_u32 v[4:5], null, s22, v9, 0
	v_cmp_gt_i64_e64 s1, s[16:17], v[24:25]
	s_delay_alu instid0(VALU_DEP_4)
	v_mad_u64_u32 v[25:26], null, s22, v12, v[0:1]
	v_add_co_u32 v32, vcc_lo, v2, v13
	v_add_co_ci_u32_e32 v33, vcc_lo, 0, v3, vcc_lo
	v_add3_u32 v5, v5, v14, v10
	v_or_b32_e32 v14, 32, v13
	v_lshlrev_b64 v[2:3], 4, v[6:7]
	v_mov_b32_e32 v6, v26
	v_lshrrev_b32_e32 v11, 6, v30
	v_cmp_gt_i64_e64 s0, s[16:17], v[18:19]
	v_mad_u64_u32 v[26:27], null, s22, v14, v[0:1]
	v_add_co_u32 v34, vcc_lo, v2, v13
	v_add_co_ci_u32_e32 v35, vcc_lo, 0, v3, vcc_lo
	v_lshlrev_b64 v[2:3], 4, v[4:5]
	v_mad_u64_u32 v[8:9], null, s22, v11, 0
	v_mov_b32_e32 v4, v27
	v_or_b32_e32 v15, 16, v13
	s_cmp_lg_u32 s33, 1
	s_delay_alu instid0(VALU_DEP_4) | instskip(NEXT) | instid1(VALU_DEP_2)
	v_add_co_u32 v27, vcc_lo, v2, v13
	v_mad_u64_u32 v[28:29], null, s22, v15, v[0:1]
	v_mov_b32_e32 v7, v9
	s_delay_alu instid0(VALU_DEP_1) | instskip(NEXT) | instid1(VALU_DEP_3)
	v_mad_u64_u32 v[9:10], null, s23, v11, v[7:8]
	v_mov_b32_e32 v5, v29
	v_mad_u64_u32 v[10:11], null, s23, v12, v[6:7]
	v_add_co_ci_u32_e32 v29, vcc_lo, 0, v3, vcc_lo
	s_delay_alu instid0(VALU_DEP_3) | instskip(NEXT) | instid1(VALU_DEP_3)
	v_mad_u64_u32 v[6:7], null, s23, v14, v[4:5]
	v_mov_b32_e32 v36, v10
	s_delay_alu instid0(VALU_DEP_2) | instskip(SKIP_2) | instid1(VALU_DEP_2)
	v_mad_u64_u32 v[11:12], null, s23, v15, v[5:6]
	v_lshlrev_b64 v[4:5], 6, v[8:9]
	v_mov_b32_e32 v37, v6
	v_add_co_u32 v39, vcc_lo, v4, v0
	s_delay_alu instid0(VALU_DEP_3)
	v_add_co_ci_u32_e32 v40, vcc_lo, v5, v1, vcc_lo
	v_mov_b32_e32 v0, s24
	v_mov_b32_e32 v4, s28
	v_dual_mov_b32 v38, v11 :: v_dual_mov_b32 v1, s25
	v_mov_b32_e32 v6, s30
	v_dual_mov_b32 v2, s26 :: v_dual_mov_b32 v3, s27
	v_mov_b32_e32 v5, s29
	v_mov_b32_e32 v7, s31
	s_cselect_b32 s25, -1, 0
	s_lshl_b64 s[26:27], s[22:23], 10
	s_branch .LBB34_4
.LBB34_2:                               ;   in Loop: Header=BB34_4 Depth=1
	s_delay_alu instid0(VALU_DEP_1) | instskip(NEXT) | instid1(VALU_DEP_3)
	v_dual_mov_b32 v0, v8 :: v_dual_mov_b32 v1, v9
	v_dual_mov_b32 v2, v10 :: v_dual_mov_b32 v3, v11
	;; [unrolled: 1-line block ×4, first 2 shown]
.LBB34_3:                               ;   in Loop: Header=BB34_4 Depth=1
	s_or_b32 exec_lo, exec_lo, s28
	v_add_co_u32 v16, vcc_lo, v16, 64
	v_add_co_ci_u32_e32 v17, vcc_lo, 0, v17, vcc_lo
	v_add_co_u32 v21, vcc_lo, 0x400, v21
	v_add_co_ci_u32_e32 v23, vcc_lo, 0, v23, vcc_lo
	;; [unrolled: 2-line block ×8, first 2 shown]
	v_cmp_le_i64_e32 vcc_lo, s[34:35], v[16:17]
	v_add_co_u32 v39, s4, v39, s26
	s_delay_alu instid0(VALU_DEP_1) | instskip(SKIP_1) | instid1(SALU_CYCLE_1)
	v_add_co_ci_u32_e64 v40, s4, s27, v40, s4
	s_or_b32 s24, vcc_lo, s24
	s_and_not1_b32 exec_lo, exec_lo, s24
	s_cbranch_execz .LBB34_27
.LBB34_4:                               ; =>This Inner Loop Header: Depth=1
	s_and_saveexec_b32 s28, s0
	s_cbranch_execnz .LBB34_8
; %bb.5:                                ;   in Loop: Header=BB34_4 Depth=1
	s_or_b32 exec_lo, exec_lo, s28
	s_and_saveexec_b32 s28, s1
	s_cbranch_execnz .LBB34_13
.LBB34_6:                               ;   in Loop: Header=BB34_4 Depth=1
	s_or_b32 exec_lo, exec_lo, s28
	s_and_saveexec_b32 s28, s2
	s_cbranch_execnz .LBB34_18
.LBB34_7:                               ;   in Loop: Header=BB34_4 Depth=1
	s_or_b32 exec_lo, exec_lo, s28
	s_and_saveexec_b32 s28, s3
	s_cbranch_execz .LBB34_3
	s_branch .LBB34_23
.LBB34_8:                               ;   in Loop: Header=BB34_4 Depth=1
	s_and_not1_b32 vcc_lo, exec_lo, s25
	s_cbranch_vccnz .LBB34_10
; %bb.9:                                ;   in Loop: Header=BB34_4 Depth=1
	v_add_co_u32 v45, vcc_lo, s20, v21
	v_add_co_ci_u32_e32 v46, vcc_lo, s21, v23, vcc_lo
	s_clause 0x3
	global_load_b128 v[8:11], v[45:46], off
	global_load_b128 v[12:15], v[45:46], off offset:16
	global_load_b128 v[41:44], v[45:46], off offset:32
	global_load_b128 v[45:48], v[45:46], off offset:48
	s_waitcnt vmcnt(3)
	v_cmp_neq_f64_e32 vcc_lo, 0, v[8:9]
	v_cmp_neq_f64_e64 s4, 0, v[10:11]
	s_waitcnt vmcnt(2)
	v_cmp_neq_f64_e64 s5, 0, v[12:13]
	v_cmp_neq_f64_e64 s6, 0, v[14:15]
	s_waitcnt vmcnt(1)
	v_cmp_neq_f64_e64 s7, 0, v[41:42]
	v_cmp_neq_f64_e64 s8, 0, v[43:44]
	v_add_co_u32 v8, s9, v0, 1
	s_delay_alu instid0(VALU_DEP_1)
	v_add_co_ci_u32_e64 v9, s9, 0, v1, s9
	s_waitcnt vmcnt(0)
	v_cmp_neq_f64_e64 s9, 0, v[45:46]
	v_cmp_neq_f64_e64 s10, 0, v[47:48]
	v_dual_mov_b32 v12, v4 :: v_dual_mov_b32 v13, v5
	s_or_b32 vcc_lo, vcc_lo, s4
	v_dual_cndmask_b32 v9, v1, v9 :: v_dual_cndmask_b32 v8, v0, v8
	s_delay_alu instid0(VALU_DEP_1) | instskip(NEXT) | instid1(VALU_DEP_2)
	v_add_co_u32 v10, vcc_lo, v8, 1
	v_add_co_ci_u32_e32 v11, vcc_lo, 0, v9, vcc_lo
	s_or_b32 vcc_lo, s5, s6
	s_delay_alu instid0(VALU_DEP_1) | instskip(NEXT) | instid1(VALU_DEP_1)
	v_dual_cndmask_b32 v8, v8, v10 :: v_dual_cndmask_b32 v9, v9, v11
	v_add_co_u32 v10, vcc_lo, v8, 1
	s_delay_alu instid0(VALU_DEP_2) | instskip(SKIP_1) | instid1(VALU_DEP_1)
	v_add_co_ci_u32_e32 v11, vcc_lo, 0, v9, vcc_lo
	s_or_b32 vcc_lo, s7, s8
	v_dual_cndmask_b32 v8, v8, v10 :: v_dual_cndmask_b32 v9, v9, v11
	v_dual_mov_b32 v10, v2 :: v_dual_mov_b32 v11, v3
	s_delay_alu instid0(VALU_DEP_2) | instskip(NEXT) | instid1(VALU_DEP_3)
	v_add_co_u32 v15, vcc_lo, v8, 1
	v_add_co_ci_u32_e32 v41, vcc_lo, 0, v9, vcc_lo
	s_or_b32 vcc_lo, s9, s10
	v_mov_b32_e32 v14, v6
	s_delay_alu instid0(VALU_DEP_3) | instskip(NEXT) | instid1(VALU_DEP_3)
	v_dual_cndmask_b32 v8, v8, v15 :: v_dual_mov_b32 v15, v7
	v_cndmask_b32_e32 v9, v9, v41, vcc_lo
	s_cbranch_execz .LBB34_11
	s_branch .LBB34_12
.LBB34_10:                              ;   in Loop: Header=BB34_4 Depth=1
                                        ; implicit-def: $vgpr8_vgpr9_vgpr10_vgpr11_vgpr12_vgpr13_vgpr14_vgpr15
.LBB34_11:                              ;   in Loop: Header=BB34_4 Depth=1
	v_add_co_u32 v8, vcc_lo, s20, v39
	v_add_co_ci_u32_e32 v9, vcc_lo, s21, v40, vcc_lo
	v_add_co_u32 v12, vcc_lo, s20, v28
	v_add_co_ci_u32_e32 v13, vcc_lo, s21, v38, vcc_lo
	global_load_b128 v[8:11], v[8:9], off
	v_add_co_u32 v41, vcc_lo, s20, v26
	global_load_b128 v[12:15], v[12:13], off
	v_add_co_ci_u32_e32 v42, vcc_lo, s21, v37, vcc_lo
	v_add_co_u32 v45, vcc_lo, s20, v25
	v_add_co_ci_u32_e32 v46, vcc_lo, s21, v36, vcc_lo
	s_clause 0x1
	global_load_b128 v[41:44], v[41:42], off
	global_load_b128 v[45:48], v[45:46], off
	s_waitcnt vmcnt(3)
	v_cmp_neq_f64_e32 vcc_lo, 0, v[8:9]
	v_cmp_neq_f64_e64 s4, 0, v[10:11]
	v_add_co_u32 v8, s9, v0, 1
	s_waitcnt vmcnt(2)
	v_cmp_neq_f64_e64 s5, 0, v[12:13]
	v_cmp_neq_f64_e64 s6, 0, v[14:15]
	v_add_co_ci_u32_e64 v9, s9, 0, v1, s9
	s_waitcnt vmcnt(1)
	v_cmp_neq_f64_e64 s7, 0, v[41:42]
	v_cmp_neq_f64_e64 s8, 0, v[43:44]
	s_waitcnt vmcnt(0)
	v_cmp_neq_f64_e64 s9, 0, v[45:46]
	v_cmp_neq_f64_e64 s10, 0, v[47:48]
	s_or_b32 vcc_lo, vcc_lo, s4
	v_dual_cndmask_b32 v1, v1, v9 :: v_dual_cndmask_b32 v0, v0, v8
	s_delay_alu instid0(VALU_DEP_1) | instskip(NEXT) | instid1(VALU_DEP_2)
	v_add_co_u32 v8, vcc_lo, v0, 1
	v_add_co_ci_u32_e32 v9, vcc_lo, 0, v1, vcc_lo
	s_or_b32 vcc_lo, s5, s6
	s_delay_alu instid0(VALU_DEP_1) | instskip(NEXT) | instid1(VALU_DEP_1)
	v_dual_cndmask_b32 v0, v0, v8 :: v_dual_cndmask_b32 v1, v1, v9
	v_add_co_u32 v8, vcc_lo, v0, 1
	s_delay_alu instid0(VALU_DEP_2) | instskip(SKIP_1) | instid1(VALU_DEP_1)
	v_add_co_ci_u32_e32 v9, vcc_lo, 0, v1, vcc_lo
	s_or_b32 vcc_lo, s7, s8
	v_dual_cndmask_b32 v0, v0, v8 :: v_dual_cndmask_b32 v1, v1, v9
	s_delay_alu instid0(VALU_DEP_1) | instskip(NEXT) | instid1(VALU_DEP_2)
	v_add_co_u32 v8, vcc_lo, v0, 1
	v_add_co_ci_u32_e32 v9, vcc_lo, 0, v1, vcc_lo
	s_or_b32 vcc_lo, s9, s10
	s_delay_alu instid0(VALU_DEP_1) | instskip(SKIP_3) | instid1(VALU_DEP_4)
	v_dual_cndmask_b32 v0, v0, v8 :: v_dual_cndmask_b32 v1, v1, v9
	v_dual_mov_b32 v15, v7 :: v_dual_mov_b32 v14, v6
	v_dual_mov_b32 v13, v5 :: v_dual_mov_b32 v12, v4
	;; [unrolled: 1-line block ×4, first 2 shown]
.LBB34_12:                              ;   in Loop: Header=BB34_4 Depth=1
	s_delay_alu instid0(VALU_DEP_1) | instskip(NEXT) | instid1(VALU_DEP_3)
	v_dual_mov_b32 v0, v8 :: v_dual_mov_b32 v1, v9
	v_dual_mov_b32 v2, v10 :: v_dual_mov_b32 v3, v11
	;; [unrolled: 1-line block ×4, first 2 shown]
	s_or_b32 exec_lo, exec_lo, s28
	s_and_saveexec_b32 s28, s1
	s_cbranch_execz .LBB34_6
.LBB34_13:                              ;   in Loop: Header=BB34_4 Depth=1
	s_and_not1_b32 vcc_lo, exec_lo, s25
	s_cbranch_vccnz .LBB34_15
; %bb.14:                               ;   in Loop: Header=BB34_4 Depth=1
	v_add_co_u32 v45, vcc_lo, s20, v32
	v_add_co_ci_u32_e32 v46, vcc_lo, s21, v33, vcc_lo
	s_clause 0x3
	global_load_b128 v[8:11], v[45:46], off
	global_load_b128 v[12:15], v[45:46], off offset:16
	global_load_b128 v[41:44], v[45:46], off offset:32
	;; [unrolled: 1-line block ×3, first 2 shown]
	s_waitcnt vmcnt(3)
	v_cmp_neq_f64_e32 vcc_lo, 0, v[8:9]
	v_cmp_neq_f64_e64 s4, 0, v[10:11]
	s_waitcnt vmcnt(2)
	v_cmp_neq_f64_e64 s5, 0, v[12:13]
	v_cmp_neq_f64_e64 s6, 0, v[14:15]
	s_waitcnt vmcnt(1)
	v_cmp_neq_f64_e64 s7, 0, v[41:42]
	v_cmp_neq_f64_e64 s8, 0, v[43:44]
	v_add_co_u32 v8, s9, v2, 1
	s_delay_alu instid0(VALU_DEP_1)
	v_add_co_ci_u32_e64 v9, s9, 0, v3, s9
	s_waitcnt vmcnt(0)
	v_cmp_neq_f64_e64 s9, 0, v[45:46]
	v_cmp_neq_f64_e64 s10, 0, v[47:48]
	v_dual_mov_b32 v12, v4 :: v_dual_mov_b32 v13, v5
	s_or_b32 vcc_lo, vcc_lo, s4
	v_dual_cndmask_b32 v9, v3, v9 :: v_dual_cndmask_b32 v8, v2, v8
	s_delay_alu instid0(VALU_DEP_1) | instskip(NEXT) | instid1(VALU_DEP_2)
	v_add_co_u32 v10, vcc_lo, v8, 1
	v_add_co_ci_u32_e32 v11, vcc_lo, 0, v9, vcc_lo
	s_or_b32 vcc_lo, s5, s6
	s_delay_alu instid0(VALU_DEP_1) | instskip(NEXT) | instid1(VALU_DEP_1)
	v_dual_cndmask_b32 v8, v8, v10 :: v_dual_cndmask_b32 v9, v9, v11
	v_add_co_u32 v10, vcc_lo, v8, 1
	s_delay_alu instid0(VALU_DEP_2) | instskip(SKIP_1) | instid1(VALU_DEP_1)
	v_add_co_ci_u32_e32 v11, vcc_lo, 0, v9, vcc_lo
	s_or_b32 vcc_lo, s7, s8
	v_dual_cndmask_b32 v10, v8, v10 :: v_dual_cndmask_b32 v11, v9, v11
	v_dual_mov_b32 v8, v0 :: v_dual_mov_b32 v9, v1
	s_delay_alu instid0(VALU_DEP_2) | instskip(NEXT) | instid1(VALU_DEP_3)
	v_add_co_u32 v15, vcc_lo, v10, 1
	v_add_co_ci_u32_e32 v41, vcc_lo, 0, v11, vcc_lo
	s_or_b32 vcc_lo, s9, s10
	v_mov_b32_e32 v14, v6
	s_delay_alu instid0(VALU_DEP_3) | instskip(NEXT) | instid1(VALU_DEP_3)
	v_dual_cndmask_b32 v10, v10, v15 :: v_dual_mov_b32 v15, v7
	v_cndmask_b32_e32 v11, v11, v41, vcc_lo
	s_cbranch_execz .LBB34_16
	s_branch .LBB34_17
.LBB34_15:                              ;   in Loop: Header=BB34_4 Depth=1
                                        ; implicit-def: $vgpr8_vgpr9_vgpr10_vgpr11_vgpr12_vgpr13_vgpr14_vgpr15
.LBB34_16:                              ;   in Loop: Header=BB34_4 Depth=1
	v_add_co_u32 v8, vcc_lo, s20, v39
	v_add_co_ci_u32_e32 v9, vcc_lo, s21, v40, vcc_lo
	v_add_co_u32 v12, vcc_lo, s20, v28
	v_add_co_ci_u32_e32 v13, vcc_lo, s21, v38, vcc_lo
	global_load_b128 v[8:11], v[8:9], off offset:1024
	v_add_co_u32 v41, vcc_lo, s20, v26
	global_load_b128 v[12:15], v[12:13], off offset:1024
	v_add_co_ci_u32_e32 v42, vcc_lo, s21, v37, vcc_lo
	v_add_co_u32 v45, vcc_lo, s20, v25
	v_add_co_ci_u32_e32 v46, vcc_lo, s21, v36, vcc_lo
	s_clause 0x1
	global_load_b128 v[41:44], v[41:42], off offset:1024
	global_load_b128 v[45:48], v[45:46], off offset:1024
	s_waitcnt vmcnt(3)
	v_cmp_neq_f64_e32 vcc_lo, 0, v[8:9]
	v_cmp_neq_f64_e64 s4, 0, v[10:11]
	v_add_co_u32 v8, s9, v2, 1
	s_waitcnt vmcnt(2)
	v_cmp_neq_f64_e64 s5, 0, v[12:13]
	v_cmp_neq_f64_e64 s6, 0, v[14:15]
	v_add_co_ci_u32_e64 v9, s9, 0, v3, s9
	s_waitcnt vmcnt(1)
	v_cmp_neq_f64_e64 s7, 0, v[41:42]
	v_cmp_neq_f64_e64 s8, 0, v[43:44]
	s_waitcnt vmcnt(0)
	v_cmp_neq_f64_e64 s9, 0, v[45:46]
	v_cmp_neq_f64_e64 s10, 0, v[47:48]
	s_or_b32 vcc_lo, vcc_lo, s4
	v_dual_cndmask_b32 v3, v3, v9 :: v_dual_cndmask_b32 v2, v2, v8
	s_delay_alu instid0(VALU_DEP_1) | instskip(NEXT) | instid1(VALU_DEP_2)
	v_add_co_u32 v8, vcc_lo, v2, 1
	v_add_co_ci_u32_e32 v9, vcc_lo, 0, v3, vcc_lo
	s_or_b32 vcc_lo, s5, s6
	s_delay_alu instid0(VALU_DEP_1) | instskip(NEXT) | instid1(VALU_DEP_1)
	v_dual_cndmask_b32 v2, v2, v8 :: v_dual_cndmask_b32 v3, v3, v9
	v_add_co_u32 v8, vcc_lo, v2, 1
	s_delay_alu instid0(VALU_DEP_2) | instskip(SKIP_1) | instid1(VALU_DEP_1)
	v_add_co_ci_u32_e32 v9, vcc_lo, 0, v3, vcc_lo
	s_or_b32 vcc_lo, s7, s8
	v_dual_cndmask_b32 v2, v2, v8 :: v_dual_cndmask_b32 v3, v3, v9
	s_delay_alu instid0(VALU_DEP_1) | instskip(NEXT) | instid1(VALU_DEP_2)
	v_add_co_u32 v8, vcc_lo, v2, 1
	v_add_co_ci_u32_e32 v9, vcc_lo, 0, v3, vcc_lo
	s_or_b32 vcc_lo, s9, s10
	s_delay_alu instid0(VALU_DEP_1) | instskip(SKIP_2) | instid1(VALU_DEP_3)
	v_dual_cndmask_b32 v2, v2, v8 :: v_dual_cndmask_b32 v3, v3, v9
	v_dual_mov_b32 v15, v7 :: v_dual_mov_b32 v14, v6
	v_dual_mov_b32 v13, v5 :: v_dual_mov_b32 v12, v4
	;; [unrolled: 1-line block ×4, first 2 shown]
.LBB34_17:                              ;   in Loop: Header=BB34_4 Depth=1
	s_delay_alu instid0(VALU_DEP_1) | instskip(NEXT) | instid1(VALU_DEP_2)
	v_dual_mov_b32 v0, v8 :: v_dual_mov_b32 v1, v9
	v_dual_mov_b32 v2, v10 :: v_dual_mov_b32 v3, v11
	;; [unrolled: 1-line block ×4, first 2 shown]
	s_or_b32 exec_lo, exec_lo, s28
	s_and_saveexec_b32 s28, s2
	s_cbranch_execz .LBB34_7
.LBB34_18:                              ;   in Loop: Header=BB34_4 Depth=1
	s_and_not1_b32 vcc_lo, exec_lo, s25
	s_cbranch_vccnz .LBB34_20
; %bb.19:                               ;   in Loop: Header=BB34_4 Depth=1
	v_add_co_u32 v45, vcc_lo, s20, v34
	v_add_co_ci_u32_e32 v46, vcc_lo, s21, v35, vcc_lo
	s_clause 0x3
	global_load_b128 v[8:11], v[45:46], off
	global_load_b128 v[12:15], v[45:46], off offset:16
	global_load_b128 v[41:44], v[45:46], off offset:32
	;; [unrolled: 1-line block ×3, first 2 shown]
	s_waitcnt vmcnt(3)
	v_cmp_neq_f64_e32 vcc_lo, 0, v[8:9]
	v_cmp_neq_f64_e64 s4, 0, v[10:11]
	s_waitcnt vmcnt(2)
	v_cmp_neq_f64_e64 s5, 0, v[12:13]
	v_cmp_neq_f64_e64 s6, 0, v[14:15]
	s_waitcnt vmcnt(1)
	v_cmp_neq_f64_e64 s7, 0, v[41:42]
	v_cmp_neq_f64_e64 s8, 0, v[43:44]
	v_add_co_u32 v8, s9, v4, 1
	s_delay_alu instid0(VALU_DEP_1)
	v_add_co_ci_u32_e64 v9, s9, 0, v5, s9
	s_waitcnt vmcnt(0)
	v_cmp_neq_f64_e64 s9, 0, v[45:46]
	v_cmp_neq_f64_e64 s10, 0, v[47:48]
	s_or_b32 vcc_lo, vcc_lo, s4
	v_dual_cndmask_b32 v9, v5, v9 :: v_dual_cndmask_b32 v8, v4, v8
	s_delay_alu instid0(VALU_DEP_1) | instskip(NEXT) | instid1(VALU_DEP_2)
	v_add_co_u32 v10, vcc_lo, v8, 1
	v_add_co_ci_u32_e32 v11, vcc_lo, 0, v9, vcc_lo
	s_or_b32 vcc_lo, s5, s6
	s_delay_alu instid0(VALU_DEP_1) | instskip(NEXT) | instid1(VALU_DEP_1)
	v_dual_cndmask_b32 v8, v8, v10 :: v_dual_cndmask_b32 v9, v9, v11
	v_add_co_u32 v10, vcc_lo, v8, 1
	s_delay_alu instid0(VALU_DEP_2) | instskip(SKIP_1) | instid1(VALU_DEP_1)
	v_add_co_ci_u32_e32 v11, vcc_lo, 0, v9, vcc_lo
	s_or_b32 vcc_lo, s7, s8
	v_dual_cndmask_b32 v15, v8, v10 :: v_dual_cndmask_b32 v12, v9, v11
	v_dual_mov_b32 v8, v0 :: v_dual_mov_b32 v9, v1
	v_dual_mov_b32 v10, v2 :: v_dual_mov_b32 v11, v3
	s_delay_alu instid0(VALU_DEP_3) | instskip(NEXT) | instid1(VALU_DEP_4)
	v_add_co_u32 v41, vcc_lo, v15, 1
	v_add_co_ci_u32_e32 v13, vcc_lo, 0, v12, vcc_lo
	s_or_b32 vcc_lo, s9, s10
	s_delay_alu instid0(VALU_DEP_1) | instskip(NEXT) | instid1(VALU_DEP_3)
	v_dual_mov_b32 v14, v6 :: v_dual_cndmask_b32 v13, v12, v13
	v_cndmask_b32_e32 v12, v15, v41, vcc_lo
	v_mov_b32_e32 v15, v7
	s_cbranch_execz .LBB34_21
	s_branch .LBB34_22
.LBB34_20:                              ;   in Loop: Header=BB34_4 Depth=1
                                        ; implicit-def: $vgpr8_vgpr9_vgpr10_vgpr11_vgpr12_vgpr13_vgpr14_vgpr15
.LBB34_21:                              ;   in Loop: Header=BB34_4 Depth=1
	v_add_co_u32 v8, vcc_lo, s20, v39
	v_add_co_ci_u32_e32 v9, vcc_lo, s21, v40, vcc_lo
	v_add_co_u32 v12, vcc_lo, s20, v28
	v_add_co_ci_u32_e32 v13, vcc_lo, s21, v38, vcc_lo
	global_load_b128 v[8:11], v[8:9], off offset:2048
	v_add_co_u32 v41, vcc_lo, s20, v26
	global_load_b128 v[12:15], v[12:13], off offset:2048
	v_add_co_ci_u32_e32 v42, vcc_lo, s21, v37, vcc_lo
	v_add_co_u32 v45, vcc_lo, s20, v25
	v_add_co_ci_u32_e32 v46, vcc_lo, s21, v36, vcc_lo
	s_clause 0x1
	global_load_b128 v[41:44], v[41:42], off offset:2048
	global_load_b128 v[45:48], v[45:46], off offset:2048
	s_waitcnt vmcnt(3)
	v_cmp_neq_f64_e32 vcc_lo, 0, v[8:9]
	v_cmp_neq_f64_e64 s4, 0, v[10:11]
	v_add_co_u32 v8, s9, v4, 1
	s_waitcnt vmcnt(2)
	v_cmp_neq_f64_e64 s5, 0, v[12:13]
	v_cmp_neq_f64_e64 s6, 0, v[14:15]
	v_add_co_ci_u32_e64 v9, s9, 0, v5, s9
	s_waitcnt vmcnt(1)
	v_cmp_neq_f64_e64 s7, 0, v[41:42]
	v_cmp_neq_f64_e64 s8, 0, v[43:44]
	s_waitcnt vmcnt(0)
	v_cmp_neq_f64_e64 s9, 0, v[45:46]
	v_cmp_neq_f64_e64 s10, 0, v[47:48]
	s_or_b32 vcc_lo, vcc_lo, s4
	v_dual_cndmask_b32 v5, v5, v9 :: v_dual_cndmask_b32 v4, v4, v8
	s_delay_alu instid0(VALU_DEP_1) | instskip(NEXT) | instid1(VALU_DEP_2)
	v_add_co_u32 v8, vcc_lo, v4, 1
	v_add_co_ci_u32_e32 v9, vcc_lo, 0, v5, vcc_lo
	s_or_b32 vcc_lo, s5, s6
	s_delay_alu instid0(VALU_DEP_1) | instskip(NEXT) | instid1(VALU_DEP_1)
	v_dual_cndmask_b32 v4, v4, v8 :: v_dual_cndmask_b32 v5, v5, v9
	v_add_co_u32 v8, vcc_lo, v4, 1
	s_delay_alu instid0(VALU_DEP_2) | instskip(SKIP_1) | instid1(VALU_DEP_1)
	v_add_co_ci_u32_e32 v9, vcc_lo, 0, v5, vcc_lo
	s_or_b32 vcc_lo, s7, s8
	v_dual_cndmask_b32 v4, v4, v8 :: v_dual_cndmask_b32 v5, v5, v9
	s_delay_alu instid0(VALU_DEP_1) | instskip(NEXT) | instid1(VALU_DEP_2)
	v_add_co_u32 v8, vcc_lo, v4, 1
	v_add_co_ci_u32_e32 v9, vcc_lo, 0, v5, vcc_lo
	s_or_b32 vcc_lo, s9, s10
	s_delay_alu instid0(VALU_DEP_1) | instskip(SKIP_2) | instid1(VALU_DEP_3)
	v_dual_cndmask_b32 v4, v4, v8 :: v_dual_cndmask_b32 v5, v5, v9
	v_dual_mov_b32 v15, v7 :: v_dual_mov_b32 v14, v6
	v_dual_mov_b32 v11, v3 :: v_dual_mov_b32 v10, v2
	;; [unrolled: 1-line block ×4, first 2 shown]
.LBB34_22:                              ;   in Loop: Header=BB34_4 Depth=1
	s_delay_alu instid0(VALU_DEP_1) | instskip(NEXT) | instid1(VALU_DEP_4)
	v_dual_mov_b32 v0, v8 :: v_dual_mov_b32 v1, v9
	v_dual_mov_b32 v2, v10 :: v_dual_mov_b32 v3, v11
	s_delay_alu instid0(VALU_DEP_4)
	v_dual_mov_b32 v4, v12 :: v_dual_mov_b32 v5, v13
	v_dual_mov_b32 v6, v14 :: v_dual_mov_b32 v7, v15
	s_or_b32 exec_lo, exec_lo, s28
	s_and_saveexec_b32 s28, s3
	s_cbranch_execz .LBB34_3
.LBB34_23:                              ;   in Loop: Header=BB34_4 Depth=1
	s_and_not1_b32 vcc_lo, exec_lo, s25
	s_cbranch_vccnz .LBB34_25
; %bb.24:                               ;   in Loop: Header=BB34_4 Depth=1
	v_add_co_u32 v45, vcc_lo, s20, v27
	v_add_co_ci_u32_e32 v46, vcc_lo, s21, v29, vcc_lo
	s_clause 0x3
	global_load_b128 v[8:11], v[45:46], off
	global_load_b128 v[12:15], v[45:46], off offset:16
	global_load_b128 v[41:44], v[45:46], off offset:32
	;; [unrolled: 1-line block ×3, first 2 shown]
	s_waitcnt vmcnt(3)
	v_cmp_neq_f64_e32 vcc_lo, 0, v[8:9]
	v_cmp_neq_f64_e64 s4, 0, v[10:11]
	s_waitcnt vmcnt(2)
	v_cmp_neq_f64_e64 s5, 0, v[12:13]
	v_cmp_neq_f64_e64 s6, 0, v[14:15]
	s_waitcnt vmcnt(1)
	v_cmp_neq_f64_e64 s7, 0, v[41:42]
	v_cmp_neq_f64_e64 s8, 0, v[43:44]
	v_add_co_u32 v8, s9, v6, 1
	s_delay_alu instid0(VALU_DEP_1)
	v_add_co_ci_u32_e64 v9, s9, 0, v7, s9
	s_waitcnt vmcnt(0)
	v_cmp_neq_f64_e64 s9, 0, v[45:46]
	v_cmp_neq_f64_e64 s10, 0, v[47:48]
	s_or_b32 vcc_lo, vcc_lo, s4
	v_dual_cndmask_b32 v9, v7, v9 :: v_dual_cndmask_b32 v8, v6, v8
	s_delay_alu instid0(VALU_DEP_1) | instskip(NEXT) | instid1(VALU_DEP_2)
	v_add_co_u32 v10, vcc_lo, v8, 1
	v_add_co_ci_u32_e32 v11, vcc_lo, 0, v9, vcc_lo
	s_or_b32 vcc_lo, s5, s6
	s_delay_alu instid0(VALU_DEP_1) | instskip(NEXT) | instid1(VALU_DEP_1)
	v_dual_cndmask_b32 v8, v8, v10 :: v_dual_cndmask_b32 v9, v9, v11
	v_add_co_u32 v10, vcc_lo, v8, 1
	s_delay_alu instid0(VALU_DEP_2) | instskip(SKIP_1) | instid1(VALU_DEP_1)
	v_add_co_ci_u32_e32 v11, vcc_lo, 0, v9, vcc_lo
	s_or_b32 vcc_lo, s7, s8
	v_dual_cndmask_b32 v14, v8, v10 :: v_dual_cndmask_b32 v13, v9, v11
	v_dual_mov_b32 v8, v0 :: v_dual_mov_b32 v9, v1
	v_dual_mov_b32 v10, v2 :: v_dual_mov_b32 v11, v3
	s_delay_alu instid0(VALU_DEP_3) | instskip(NEXT) | instid1(VALU_DEP_4)
	v_add_co_u32 v41, vcc_lo, v14, 1
	v_add_co_ci_u32_e32 v15, vcc_lo, 0, v13, vcc_lo
	s_or_b32 vcc_lo, s9, s10
	v_mov_b32_e32 v12, v4
	s_delay_alu instid0(VALU_DEP_2)
	v_dual_cndmask_b32 v14, v14, v41 :: v_dual_cndmask_b32 v15, v13, v15
	v_mov_b32_e32 v13, v5
	s_cbranch_execnz .LBB34_2
	s_branch .LBB34_26
.LBB34_25:                              ;   in Loop: Header=BB34_4 Depth=1
                                        ; implicit-def: $vgpr8_vgpr9_vgpr10_vgpr11_vgpr12_vgpr13_vgpr14_vgpr15
.LBB34_26:                              ;   in Loop: Header=BB34_4 Depth=1
	v_add_co_u32 v8, vcc_lo, s20, v39
	v_add_co_ci_u32_e32 v9, vcc_lo, s21, v40, vcc_lo
	v_add_co_u32 v12, vcc_lo, s20, v28
	v_add_co_ci_u32_e32 v13, vcc_lo, s21, v38, vcc_lo
	global_load_b128 v[8:11], v[8:9], off offset:3072
	v_add_co_u32 v41, vcc_lo, s20, v26
	global_load_b128 v[12:15], v[12:13], off offset:3072
	v_add_co_ci_u32_e32 v42, vcc_lo, s21, v37, vcc_lo
	v_add_co_u32 v45, vcc_lo, s20, v25
	v_add_co_ci_u32_e32 v46, vcc_lo, s21, v36, vcc_lo
	s_clause 0x1
	global_load_b128 v[41:44], v[41:42], off offset:3072
	global_load_b128 v[45:48], v[45:46], off offset:3072
	s_waitcnt vmcnt(3)
	v_cmp_neq_f64_e32 vcc_lo, 0, v[8:9]
	v_cmp_neq_f64_e64 s4, 0, v[10:11]
	v_add_co_u32 v8, s9, v6, 1
	s_waitcnt vmcnt(2)
	v_cmp_neq_f64_e64 s5, 0, v[12:13]
	v_cmp_neq_f64_e64 s6, 0, v[14:15]
	v_add_co_ci_u32_e64 v9, s9, 0, v7, s9
	s_waitcnt vmcnt(1)
	v_cmp_neq_f64_e64 s7, 0, v[41:42]
	v_cmp_neq_f64_e64 s8, 0, v[43:44]
	s_waitcnt vmcnt(0)
	v_cmp_neq_f64_e64 s9, 0, v[45:46]
	v_cmp_neq_f64_e64 s10, 0, v[47:48]
	s_or_b32 vcc_lo, vcc_lo, s4
	v_dual_cndmask_b32 v7, v7, v9 :: v_dual_cndmask_b32 v6, v6, v8
	s_delay_alu instid0(VALU_DEP_1) | instskip(NEXT) | instid1(VALU_DEP_2)
	v_add_co_u32 v8, vcc_lo, v6, 1
	v_add_co_ci_u32_e32 v9, vcc_lo, 0, v7, vcc_lo
	s_or_b32 vcc_lo, s5, s6
	s_delay_alu instid0(VALU_DEP_1) | instskip(NEXT) | instid1(VALU_DEP_1)
	v_dual_cndmask_b32 v6, v6, v8 :: v_dual_cndmask_b32 v7, v7, v9
	v_add_co_u32 v8, vcc_lo, v6, 1
	s_delay_alu instid0(VALU_DEP_2) | instskip(SKIP_1) | instid1(VALU_DEP_1)
	v_add_co_ci_u32_e32 v9, vcc_lo, 0, v7, vcc_lo
	s_or_b32 vcc_lo, s7, s8
	v_dual_cndmask_b32 v6, v6, v8 :: v_dual_cndmask_b32 v7, v7, v9
	s_delay_alu instid0(VALU_DEP_1) | instskip(NEXT) | instid1(VALU_DEP_2)
	v_add_co_u32 v8, vcc_lo, v6, 1
	v_add_co_ci_u32_e32 v9, vcc_lo, 0, v7, vcc_lo
	s_or_b32 vcc_lo, s9, s10
	s_delay_alu instid0(VALU_DEP_1) | instskip(NEXT) | instid1(VALU_DEP_1)
	v_dual_cndmask_b32 v6, v6, v8 :: v_dual_cndmask_b32 v7, v7, v9
	v_dual_mov_b32 v15, v7 :: v_dual_mov_b32 v14, v6
	v_dual_mov_b32 v13, v5 :: v_dual_mov_b32 v12, v4
	;; [unrolled: 1-line block ×4, first 2 shown]
	s_branch .LBB34_2
.LBB34_27:
	s_or_b32 exec_lo, exec_lo, s24
.LBB34_28:
	s_delay_alu instid0(SALU_CYCLE_1) | instskip(SKIP_1) | instid1(VALU_DEP_1)
	s_or_b32 exec_lo, exec_lo, s36
	v_cmp_lt_i64_e64 s0, s[14:15], 1
	s_and_b32 vcc_lo, exec_lo, s0
	s_cbranch_vccnz .LBB34_126
; %bb.29:
	v_lshlrev_b64 v[8:9], 4, v[16:17]
	s_cmp_eq_u32 s33, 1
	s_mov_b32 s3, exec_lo
	s_cselect_b32 s2, -1, 0
	s_cmp_lg_u32 s33, 1
	s_cselect_b32 s1, -1, 0
	v_add_co_u32 v27, s0, s20, v8
	s_delay_alu instid0(VALU_DEP_1)
	v_add_co_ci_u32_e64 v28, s0, s21, v9, s0
	v_lshlrev_b64 v[8:9], 4, v[18:19]
	v_cmpx_gt_i64_e64 s[16:17], v[18:19]
	s_cbranch_execz .LBB34_53
; %bb.30:
	v_mad_u64_u32 v[10:11], null, v18, s22, 0
	s_mov_b32 s4, exec_lo
	s_delay_alu instid0(VALU_DEP_1) | instskip(NEXT) | instid1(VALU_DEP_1)
	v_mad_u64_u32 v[12:13], null, v18, s23, v[11:12]
	v_mov_b32_e32 v11, v12
	s_delay_alu instid0(VALU_DEP_1) | instskip(NEXT) | instid1(VALU_DEP_1)
	v_lshlrev_b64 v[10:11], 4, v[10:11]
	v_add_co_u32 v10, s0, v27, v10
	s_delay_alu instid0(VALU_DEP_1) | instskip(SKIP_1) | instid1(VALU_DEP_1)
	v_add_co_ci_u32_e64 v11, s0, v28, v11, s0
	v_add_co_u32 v18, s0, s20, v8
	v_add_co_ci_u32_e64 v21, s0, s21, v9, s0
	v_cmpx_gt_i64_e64 s[18:19], v[16:17]
	s_cbranch_execz .LBB34_34
; %bb.31:
	v_dual_mov_b32 v13, v11 :: v_dual_mov_b32 v12, v10
	s_and_not1_b32 vcc_lo, exec_lo, s2
	s_cbranch_vccnz .LBB34_33
; %bb.32:
	v_mul_lo_u32 v14, v17, s22
	v_mul_lo_u32 v15, v16, s23
	v_mad_u64_u32 v[12:13], null, v16, s22, 0
	s_delay_alu instid0(VALU_DEP_1) | instskip(NEXT) | instid1(VALU_DEP_1)
	v_add3_u32 v13, v13, v15, v14
	v_lshlrev_b64 v[12:13], 4, v[12:13]
	s_delay_alu instid0(VALU_DEP_1) | instskip(NEXT) | instid1(VALU_DEP_2)
	v_add_co_u32 v12, vcc_lo, v18, v12
	v_add_co_ci_u32_e32 v13, vcc_lo, v21, v13, vcc_lo
.LBB34_33:
	global_load_b128 v[12:15], v[12:13], off
	s_waitcnt vmcnt(0)
	v_cmp_neq_f64_e32 vcc_lo, 0, v[12:13]
	v_cmp_neq_f64_e64 s0, 0, v[14:15]
	s_delay_alu instid0(VALU_DEP_1) | instskip(NEXT) | instid1(SALU_CYCLE_1)
	s_or_b32 s0, vcc_lo, s0
	v_cndmask_b32_e64 v12, 0, 1, s0
	s_delay_alu instid0(VALU_DEP_1)
	v_add_co_u32 v0, vcc_lo, v0, v12
	v_add_co_ci_u32_e32 v1, vcc_lo, 0, v1, vcc_lo
.LBB34_34:
	s_or_b32 exec_lo, exec_lo, s4
	v_or_b32_e32 v12, 1, v16
	v_mov_b32_e32 v13, v17
	s_mov_b32 s4, exec_lo
	s_delay_alu instid0(VALU_DEP_1)
	v_cmpx_gt_i64_e64 s[18:19], v[12:13]
	s_cbranch_execz .LBB34_40
; %bb.35:
	s_and_not1_b32 vcc_lo, exec_lo, s1
	s_cbranch_vccnz .LBB34_37
; %bb.36:
	v_add_co_u32 v14, vcc_lo, v10, 16
	v_add_co_ci_u32_e32 v15, vcc_lo, 0, v11, vcc_lo
	v_add_co_u32 v25, vcc_lo, v10, 24
	v_add_co_ci_u32_e32 v26, vcc_lo, 0, v11, vcc_lo
	s_cbranch_execz .LBB34_38
	s_branch .LBB34_39
.LBB34_37:
                                        ; implicit-def: $vgpr14_vgpr15
                                        ; implicit-def: $vgpr25_vgpr26
.LBB34_38:
	v_mul_lo_u32 v15, v13, s22
	v_mul_lo_u32 v23, v12, s23
	v_mad_u64_u32 v[13:14], null, v12, s22, 0
	s_delay_alu instid0(VALU_DEP_1) | instskip(NEXT) | instid1(VALU_DEP_1)
	v_add3_u32 v14, v14, v23, v15
	v_lshlrev_b64 v[12:13], 4, v[13:14]
	s_delay_alu instid0(VALU_DEP_1) | instskip(NEXT) | instid1(VALU_DEP_2)
	v_add_co_u32 v14, vcc_lo, v18, v12
	v_add_co_ci_u32_e32 v15, vcc_lo, v21, v13, vcc_lo
	s_delay_alu instid0(VALU_DEP_2) | instskip(NEXT) | instid1(VALU_DEP_2)
	v_add_co_u32 v25, vcc_lo, v14, 8
	v_add_co_ci_u32_e32 v26, vcc_lo, 0, v15, vcc_lo
.LBB34_39:
	global_load_b64 v[12:13], v[14:15], off
	global_load_b64 v[14:15], v[25:26], off
	s_waitcnt vmcnt(1)
	v_cmp_neq_f64_e32 vcc_lo, 0, v[12:13]
	s_waitcnt vmcnt(0)
	v_cmp_neq_f64_e64 s0, 0, v[14:15]
	s_delay_alu instid0(VALU_DEP_1) | instskip(NEXT) | instid1(SALU_CYCLE_1)
	s_or_b32 s0, vcc_lo, s0
	v_cndmask_b32_e64 v12, 0, 1, s0
	s_delay_alu instid0(VALU_DEP_1)
	v_add_co_u32 v0, vcc_lo, v0, v12
	v_add_co_ci_u32_e32 v1, vcc_lo, 0, v1, vcc_lo
.LBB34_40:
	s_or_b32 exec_lo, exec_lo, s4
	v_or_b32_e32 v12, 2, v16
	v_mov_b32_e32 v13, v17
	s_mov_b32 s4, exec_lo
	s_delay_alu instid0(VALU_DEP_1)
	v_cmpx_gt_i64_e64 s[18:19], v[12:13]
	s_cbranch_execz .LBB34_46
; %bb.41:
	s_and_not1_b32 vcc_lo, exec_lo, s1
	s_cbranch_vccnz .LBB34_43
; %bb.42:
	v_add_co_u32 v14, vcc_lo, v10, 32
	v_add_co_ci_u32_e32 v15, vcc_lo, 0, v11, vcc_lo
	v_add_co_u32 v25, vcc_lo, v10, 40
	v_add_co_ci_u32_e32 v26, vcc_lo, 0, v11, vcc_lo
	s_cbranch_execz .LBB34_44
	s_branch .LBB34_45
.LBB34_43:
                                        ; implicit-def: $vgpr14_vgpr15
                                        ; implicit-def: $vgpr25_vgpr26
.LBB34_44:
	v_mul_lo_u32 v15, v13, s22
	v_mul_lo_u32 v23, v12, s23
	v_mad_u64_u32 v[13:14], null, v12, s22, 0
	s_delay_alu instid0(VALU_DEP_1) | instskip(NEXT) | instid1(VALU_DEP_1)
	v_add3_u32 v14, v14, v23, v15
	v_lshlrev_b64 v[12:13], 4, v[13:14]
	s_delay_alu instid0(VALU_DEP_1) | instskip(NEXT) | instid1(VALU_DEP_2)
	v_add_co_u32 v14, vcc_lo, v18, v12
	v_add_co_ci_u32_e32 v15, vcc_lo, v21, v13, vcc_lo
	s_delay_alu instid0(VALU_DEP_2) | instskip(NEXT) | instid1(VALU_DEP_2)
	v_add_co_u32 v25, vcc_lo, v14, 8
	v_add_co_ci_u32_e32 v26, vcc_lo, 0, v15, vcc_lo
.LBB34_45:
	global_load_b64 v[12:13], v[14:15], off
	global_load_b64 v[14:15], v[25:26], off
	s_waitcnt vmcnt(1)
	v_cmp_neq_f64_e32 vcc_lo, 0, v[12:13]
	s_waitcnt vmcnt(0)
	v_cmp_neq_f64_e64 s0, 0, v[14:15]
	s_delay_alu instid0(VALU_DEP_1) | instskip(NEXT) | instid1(SALU_CYCLE_1)
	s_or_b32 s0, vcc_lo, s0
	v_cndmask_b32_e64 v12, 0, 1, s0
	s_delay_alu instid0(VALU_DEP_1)
	v_add_co_u32 v0, vcc_lo, v0, v12
	v_add_co_ci_u32_e32 v1, vcc_lo, 0, v1, vcc_lo
.LBB34_46:
	s_or_b32 exec_lo, exec_lo, s4
	v_or_b32_e32 v12, 3, v16
	v_mov_b32_e32 v13, v17
	s_mov_b32 s4, exec_lo
	s_delay_alu instid0(VALU_DEP_1)
	v_cmpx_gt_i64_e64 s[18:19], v[12:13]
	s_cbranch_execz .LBB34_52
; %bb.47:
	s_and_not1_b32 vcc_lo, exec_lo, s1
	s_cbranch_vccnz .LBB34_49
; %bb.48:
	v_add_co_u32 v14, vcc_lo, v10, 48
	v_add_co_ci_u32_e32 v15, vcc_lo, 0, v11, vcc_lo
	v_add_co_u32 v10, vcc_lo, v10, 56
	v_add_co_ci_u32_e32 v11, vcc_lo, 0, v11, vcc_lo
	s_cbranch_execz .LBB34_50
	s_branch .LBB34_51
.LBB34_49:
                                        ; implicit-def: $vgpr14_vgpr15
                                        ; implicit-def: $vgpr10_vgpr11
.LBB34_50:
	v_mul_lo_u32 v13, v13, s22
	v_mul_lo_u32 v14, v12, s23
	v_mad_u64_u32 v[10:11], null, v12, s22, 0
	s_delay_alu instid0(VALU_DEP_1) | instskip(NEXT) | instid1(VALU_DEP_1)
	v_add3_u32 v11, v11, v14, v13
	v_lshlrev_b64 v[10:11], 4, v[10:11]
	s_delay_alu instid0(VALU_DEP_1) | instskip(NEXT) | instid1(VALU_DEP_2)
	v_add_co_u32 v14, vcc_lo, v18, v10
	v_add_co_ci_u32_e32 v15, vcc_lo, v21, v11, vcc_lo
	s_delay_alu instid0(VALU_DEP_2) | instskip(NEXT) | instid1(VALU_DEP_2)
	v_add_co_u32 v10, vcc_lo, v14, 8
	v_add_co_ci_u32_e32 v11, vcc_lo, 0, v15, vcc_lo
.LBB34_51:
	global_load_b64 v[12:13], v[14:15], off
	global_load_b64 v[10:11], v[10:11], off
	s_waitcnt vmcnt(1)
	v_cmp_neq_f64_e32 vcc_lo, 0, v[12:13]
	s_waitcnt vmcnt(0)
	v_cmp_neq_f64_e64 s0, 0, v[10:11]
	s_delay_alu instid0(VALU_DEP_1) | instskip(NEXT) | instid1(SALU_CYCLE_1)
	s_or_b32 s0, vcc_lo, s0
	v_cndmask_b32_e64 v10, 0, 1, s0
	s_delay_alu instid0(VALU_DEP_1)
	v_add_co_u32 v0, vcc_lo, v0, v10
	v_add_co_ci_u32_e32 v1, vcc_lo, 0, v1, vcc_lo
.LBB34_52:
	s_or_b32 exec_lo, exec_lo, s4
.LBB34_53:
	s_delay_alu instid0(SALU_CYCLE_1) | instskip(SKIP_2) | instid1(VALU_DEP_1)
	s_or_b32 exec_lo, exec_lo, s3
	v_mov_b32_e32 v25, v19
	s_mov_b32 s3, exec_lo
	v_cmpx_gt_i64_e64 s[16:17], v[24:25]
	s_cbranch_execz .LBB34_77
; %bb.54:
	v_mad_u64_u32 v[10:11], null, v24, s22, 0
	s_mov_b32 s4, exec_lo
	s_delay_alu instid0(VALU_DEP_1) | instskip(NEXT) | instid1(VALU_DEP_1)
	v_mad_u64_u32 v[12:13], null, v24, s23, v[11:12]
	v_mov_b32_e32 v11, v12
	s_delay_alu instid0(VALU_DEP_1) | instskip(NEXT) | instid1(VALU_DEP_1)
	v_lshlrev_b64 v[10:11], 4, v[10:11]
	v_add_co_u32 v10, s0, v27, v10
	s_delay_alu instid0(VALU_DEP_1) | instskip(SKIP_1) | instid1(VALU_DEP_1)
	v_add_co_ci_u32_e64 v11, s0, v28, v11, s0
	v_add_co_u32 v18, s0, s20, v8
	v_add_co_ci_u32_e64 v21, s0, s21, v9, s0
	v_cmpx_gt_i64_e64 s[18:19], v[16:17]
	s_cbranch_execz .LBB34_58
; %bb.55:
	v_dual_mov_b32 v13, v11 :: v_dual_mov_b32 v12, v10
	s_and_not1_b32 vcc_lo, exec_lo, s2
	s_cbranch_vccnz .LBB34_57
; %bb.56:
	v_mul_lo_u32 v14, v17, s22
	v_mul_lo_u32 v15, v16, s23
	v_mad_u64_u32 v[12:13], null, v16, s22, 0
	s_delay_alu instid0(VALU_DEP_1) | instskip(NEXT) | instid1(VALU_DEP_1)
	v_add3_u32 v13, v13, v15, v14
	v_lshlrev_b64 v[12:13], 4, v[12:13]
	s_delay_alu instid0(VALU_DEP_1) | instskip(NEXT) | instid1(VALU_DEP_2)
	v_add_co_u32 v12, vcc_lo, v18, v12
	v_add_co_ci_u32_e32 v13, vcc_lo, v21, v13, vcc_lo
	s_delay_alu instid0(VALU_DEP_2) | instskip(NEXT) | instid1(VALU_DEP_2)
	v_add_co_u32 v12, vcc_lo, 0x400, v12
	v_add_co_ci_u32_e32 v13, vcc_lo, 0, v13, vcc_lo
.LBB34_57:
	global_load_b128 v[12:15], v[12:13], off
	s_waitcnt vmcnt(0)
	v_cmp_neq_f64_e32 vcc_lo, 0, v[12:13]
	v_cmp_neq_f64_e64 s0, 0, v[14:15]
	s_delay_alu instid0(VALU_DEP_1) | instskip(NEXT) | instid1(SALU_CYCLE_1)
	s_or_b32 s0, vcc_lo, s0
	v_cndmask_b32_e64 v12, 0, 1, s0
	s_delay_alu instid0(VALU_DEP_1)
	v_add_co_u32 v2, vcc_lo, v2, v12
	v_add_co_ci_u32_e32 v3, vcc_lo, 0, v3, vcc_lo
.LBB34_58:
	s_or_b32 exec_lo, exec_lo, s4
	v_or_b32_e32 v12, 1, v16
	v_mov_b32_e32 v13, v17
	s_mov_b32 s4, exec_lo
	s_delay_alu instid0(VALU_DEP_1)
	v_cmpx_gt_i64_e64 s[18:19], v[12:13]
	s_cbranch_execz .LBB34_64
; %bb.59:
	s_and_not1_b32 vcc_lo, exec_lo, s1
	s_cbranch_vccnz .LBB34_61
; %bb.60:
	v_add_co_u32 v14, vcc_lo, v10, 16
	v_add_co_ci_u32_e32 v15, vcc_lo, 0, v11, vcc_lo
	v_add_co_u32 v23, vcc_lo, v10, 24
	v_add_co_ci_u32_e32 v24, vcc_lo, 0, v11, vcc_lo
	s_cbranch_execz .LBB34_62
	s_branch .LBB34_63
.LBB34_61:
                                        ; implicit-def: $vgpr14_vgpr15
                                        ; implicit-def: $vgpr23_vgpr24
.LBB34_62:
	v_mul_lo_u32 v15, v13, s22
	v_mul_lo_u32 v23, v12, s23
	v_mad_u64_u32 v[13:14], null, v12, s22, 0
	s_delay_alu instid0(VALU_DEP_1) | instskip(NEXT) | instid1(VALU_DEP_1)
	v_add3_u32 v14, v14, v23, v15
	v_lshlrev_b64 v[12:13], 4, v[13:14]
	s_delay_alu instid0(VALU_DEP_1) | instskip(NEXT) | instid1(VALU_DEP_2)
	v_add_co_u32 v12, vcc_lo, v18, v12
	v_add_co_ci_u32_e32 v13, vcc_lo, v21, v13, vcc_lo
	s_delay_alu instid0(VALU_DEP_2) | instskip(NEXT) | instid1(VALU_DEP_2)
	v_add_co_u32 v14, vcc_lo, 0x400, v12
	v_add_co_ci_u32_e32 v15, vcc_lo, 0, v13, vcc_lo
	v_add_co_u32 v23, vcc_lo, 0x408, v12
	v_add_co_ci_u32_e32 v24, vcc_lo, 0, v13, vcc_lo
.LBB34_63:
	global_load_b64 v[12:13], v[14:15], off
	global_load_b64 v[14:15], v[23:24], off
	s_waitcnt vmcnt(1)
	v_cmp_neq_f64_e32 vcc_lo, 0, v[12:13]
	s_waitcnt vmcnt(0)
	v_cmp_neq_f64_e64 s0, 0, v[14:15]
	s_delay_alu instid0(VALU_DEP_1) | instskip(NEXT) | instid1(SALU_CYCLE_1)
	s_or_b32 s0, vcc_lo, s0
	v_cndmask_b32_e64 v12, 0, 1, s0
	s_delay_alu instid0(VALU_DEP_1)
	v_add_co_u32 v2, vcc_lo, v2, v12
	v_add_co_ci_u32_e32 v3, vcc_lo, 0, v3, vcc_lo
.LBB34_64:
	s_or_b32 exec_lo, exec_lo, s4
	v_or_b32_e32 v12, 2, v16
	v_mov_b32_e32 v13, v17
	s_mov_b32 s4, exec_lo
	s_delay_alu instid0(VALU_DEP_1)
	v_cmpx_gt_i64_e64 s[18:19], v[12:13]
	s_cbranch_execz .LBB34_70
; %bb.65:
	s_and_not1_b32 vcc_lo, exec_lo, s1
	s_cbranch_vccnz .LBB34_67
; %bb.66:
	v_add_co_u32 v14, vcc_lo, v10, 32
	v_add_co_ci_u32_e32 v15, vcc_lo, 0, v11, vcc_lo
	v_add_co_u32 v23, vcc_lo, v10, 40
	v_add_co_ci_u32_e32 v24, vcc_lo, 0, v11, vcc_lo
	s_cbranch_execz .LBB34_68
	s_branch .LBB34_69
.LBB34_67:
                                        ; implicit-def: $vgpr14_vgpr15
                                        ; implicit-def: $vgpr23_vgpr24
.LBB34_68:
	v_mul_lo_u32 v15, v13, s22
	v_mul_lo_u32 v23, v12, s23
	v_mad_u64_u32 v[13:14], null, v12, s22, 0
	s_delay_alu instid0(VALU_DEP_1) | instskip(NEXT) | instid1(VALU_DEP_1)
	v_add3_u32 v14, v14, v23, v15
	v_lshlrev_b64 v[12:13], 4, v[13:14]
	s_delay_alu instid0(VALU_DEP_1) | instskip(NEXT) | instid1(VALU_DEP_2)
	v_add_co_u32 v12, vcc_lo, v18, v12
	v_add_co_ci_u32_e32 v13, vcc_lo, v21, v13, vcc_lo
	s_delay_alu instid0(VALU_DEP_2) | instskip(NEXT) | instid1(VALU_DEP_2)
	v_add_co_u32 v14, vcc_lo, 0x400, v12
	v_add_co_ci_u32_e32 v15, vcc_lo, 0, v13, vcc_lo
	v_add_co_u32 v23, vcc_lo, 0x408, v12
	v_add_co_ci_u32_e32 v24, vcc_lo, 0, v13, vcc_lo
.LBB34_69:
	global_load_b64 v[12:13], v[14:15], off
	global_load_b64 v[14:15], v[23:24], off
	s_waitcnt vmcnt(1)
	v_cmp_neq_f64_e32 vcc_lo, 0, v[12:13]
	s_waitcnt vmcnt(0)
	v_cmp_neq_f64_e64 s0, 0, v[14:15]
	s_delay_alu instid0(VALU_DEP_1) | instskip(NEXT) | instid1(SALU_CYCLE_1)
	s_or_b32 s0, vcc_lo, s0
	v_cndmask_b32_e64 v12, 0, 1, s0
	s_delay_alu instid0(VALU_DEP_1)
	v_add_co_u32 v2, vcc_lo, v2, v12
	v_add_co_ci_u32_e32 v3, vcc_lo, 0, v3, vcc_lo
.LBB34_70:
	s_or_b32 exec_lo, exec_lo, s4
	v_or_b32_e32 v12, 3, v16
	v_mov_b32_e32 v13, v17
	s_mov_b32 s4, exec_lo
	s_delay_alu instid0(VALU_DEP_1)
	v_cmpx_gt_i64_e64 s[18:19], v[12:13]
	s_cbranch_execz .LBB34_76
; %bb.71:
	s_and_not1_b32 vcc_lo, exec_lo, s1
	s_cbranch_vccnz .LBB34_73
; %bb.72:
	v_add_co_u32 v14, vcc_lo, v10, 48
	v_add_co_ci_u32_e32 v15, vcc_lo, 0, v11, vcc_lo
	v_add_co_u32 v10, vcc_lo, v10, 56
	v_add_co_ci_u32_e32 v11, vcc_lo, 0, v11, vcc_lo
	s_cbranch_execz .LBB34_74
	s_branch .LBB34_75
.LBB34_73:
                                        ; implicit-def: $vgpr14_vgpr15
                                        ; implicit-def: $vgpr10_vgpr11
.LBB34_74:
	v_mul_lo_u32 v13, v13, s22
	v_mul_lo_u32 v14, v12, s23
	v_mad_u64_u32 v[10:11], null, v12, s22, 0
	s_delay_alu instid0(VALU_DEP_1) | instskip(NEXT) | instid1(VALU_DEP_1)
	v_add3_u32 v11, v11, v14, v13
	v_lshlrev_b64 v[10:11], 4, v[10:11]
	s_delay_alu instid0(VALU_DEP_1) | instskip(NEXT) | instid1(VALU_DEP_2)
	v_add_co_u32 v10, vcc_lo, v18, v10
	v_add_co_ci_u32_e32 v11, vcc_lo, v21, v11, vcc_lo
	s_delay_alu instid0(VALU_DEP_2) | instskip(NEXT) | instid1(VALU_DEP_2)
	v_add_co_u32 v14, vcc_lo, 0x400, v10
	v_add_co_ci_u32_e32 v15, vcc_lo, 0, v11, vcc_lo
	v_add_co_u32 v10, vcc_lo, 0x408, v10
	v_add_co_ci_u32_e32 v11, vcc_lo, 0, v11, vcc_lo
.LBB34_75:
	global_load_b64 v[12:13], v[14:15], off
	global_load_b64 v[10:11], v[10:11], off
	s_waitcnt vmcnt(1)
	v_cmp_neq_f64_e32 vcc_lo, 0, v[12:13]
	s_waitcnt vmcnt(0)
	v_cmp_neq_f64_e64 s0, 0, v[10:11]
	s_delay_alu instid0(VALU_DEP_1) | instskip(NEXT) | instid1(SALU_CYCLE_1)
	s_or_b32 s0, vcc_lo, s0
	v_cndmask_b32_e64 v10, 0, 1, s0
	s_delay_alu instid0(VALU_DEP_1)
	v_add_co_u32 v2, vcc_lo, v2, v10
	v_add_co_ci_u32_e32 v3, vcc_lo, 0, v3, vcc_lo
.LBB34_76:
	s_or_b32 exec_lo, exec_lo, s4
.LBB34_77:
	s_delay_alu instid0(SALU_CYCLE_1) | instskip(SKIP_2) | instid1(VALU_DEP_1)
	s_or_b32 exec_lo, exec_lo, s3
	v_mov_b32_e32 v23, v19
	s_mov_b32 s3, exec_lo
	v_cmpx_gt_i64_e64 s[16:17], v[22:23]
	s_cbranch_execz .LBB34_101
; %bb.78:
	v_mad_u64_u32 v[10:11], null, v22, s22, 0
	s_mov_b32 s4, exec_lo
	s_delay_alu instid0(VALU_DEP_1) | instskip(NEXT) | instid1(VALU_DEP_1)
	v_mad_u64_u32 v[12:13], null, v22, s23, v[11:12]
	v_mov_b32_e32 v11, v12
	s_delay_alu instid0(VALU_DEP_1) | instskip(NEXT) | instid1(VALU_DEP_1)
	v_lshlrev_b64 v[10:11], 4, v[10:11]
	v_add_co_u32 v10, s0, v27, v10
	s_delay_alu instid0(VALU_DEP_1) | instskip(SKIP_1) | instid1(VALU_DEP_1)
	v_add_co_ci_u32_e64 v11, s0, v28, v11, s0
	v_add_co_u32 v18, s0, s20, v8
	v_add_co_ci_u32_e64 v23, s0, s21, v9, s0
	v_cmpx_gt_i64_e64 s[18:19], v[16:17]
	s_cbranch_execz .LBB34_82
; %bb.79:
	v_dual_mov_b32 v13, v11 :: v_dual_mov_b32 v12, v10
	s_and_not1_b32 vcc_lo, exec_lo, s2
	s_cbranch_vccnz .LBB34_81
; %bb.80:
	v_mul_lo_u32 v14, v17, s22
	v_mul_lo_u32 v15, v16, s23
	v_mad_u64_u32 v[12:13], null, v16, s22, 0
	s_delay_alu instid0(VALU_DEP_1) | instskip(NEXT) | instid1(VALU_DEP_1)
	v_add3_u32 v13, v13, v15, v14
	v_lshlrev_b64 v[12:13], 4, v[12:13]
	s_delay_alu instid0(VALU_DEP_1) | instskip(NEXT) | instid1(VALU_DEP_2)
	v_add_co_u32 v12, vcc_lo, v18, v12
	v_add_co_ci_u32_e32 v13, vcc_lo, v23, v13, vcc_lo
	s_delay_alu instid0(VALU_DEP_2) | instskip(NEXT) | instid1(VALU_DEP_2)
	v_add_co_u32 v12, vcc_lo, 0x800, v12
	v_add_co_ci_u32_e32 v13, vcc_lo, 0, v13, vcc_lo
.LBB34_81:
	global_load_b128 v[12:15], v[12:13], off
	s_waitcnt vmcnt(0)
	v_cmp_neq_f64_e32 vcc_lo, 0, v[12:13]
	v_cmp_neq_f64_e64 s0, 0, v[14:15]
	s_delay_alu instid0(VALU_DEP_1) | instskip(NEXT) | instid1(SALU_CYCLE_1)
	s_or_b32 s0, vcc_lo, s0
	v_cndmask_b32_e64 v12, 0, 1, s0
	s_delay_alu instid0(VALU_DEP_1)
	v_add_co_u32 v4, vcc_lo, v4, v12
	v_add_co_ci_u32_e32 v5, vcc_lo, 0, v5, vcc_lo
.LBB34_82:
	s_or_b32 exec_lo, exec_lo, s4
	v_or_b32_e32 v12, 1, v16
	v_mov_b32_e32 v13, v17
	s_mov_b32 s4, exec_lo
	s_delay_alu instid0(VALU_DEP_1)
	v_cmpx_gt_i64_e64 s[18:19], v[12:13]
	s_cbranch_execz .LBB34_88
; %bb.83:
	s_and_not1_b32 vcc_lo, exec_lo, s1
	s_cbranch_vccnz .LBB34_85
; %bb.84:
	v_add_co_u32 v14, vcc_lo, v10, 16
	v_add_co_ci_u32_e32 v15, vcc_lo, 0, v11, vcc_lo
	v_add_co_u32 v21, vcc_lo, v10, 24
	v_add_co_ci_u32_e32 v22, vcc_lo, 0, v11, vcc_lo
	s_cbranch_execz .LBB34_86
	s_branch .LBB34_87
.LBB34_85:
                                        ; implicit-def: $vgpr14_vgpr15
                                        ; implicit-def: $vgpr21_vgpr22
.LBB34_86:
	v_mul_lo_u32 v15, v13, s22
	v_mul_lo_u32 v21, v12, s23
	v_mad_u64_u32 v[13:14], null, v12, s22, 0
	s_delay_alu instid0(VALU_DEP_1) | instskip(NEXT) | instid1(VALU_DEP_1)
	v_add3_u32 v14, v14, v21, v15
	v_lshlrev_b64 v[12:13], 4, v[13:14]
	s_delay_alu instid0(VALU_DEP_1) | instskip(NEXT) | instid1(VALU_DEP_2)
	v_add_co_u32 v12, vcc_lo, v18, v12
	v_add_co_ci_u32_e32 v13, vcc_lo, v23, v13, vcc_lo
	s_delay_alu instid0(VALU_DEP_2) | instskip(NEXT) | instid1(VALU_DEP_2)
	v_add_co_u32 v14, vcc_lo, 0x800, v12
	v_add_co_ci_u32_e32 v15, vcc_lo, 0, v13, vcc_lo
	v_add_co_u32 v21, vcc_lo, 0x808, v12
	v_add_co_ci_u32_e32 v22, vcc_lo, 0, v13, vcc_lo
.LBB34_87:
	global_load_b64 v[12:13], v[14:15], off
	global_load_b64 v[14:15], v[21:22], off
	s_waitcnt vmcnt(1)
	v_cmp_neq_f64_e32 vcc_lo, 0, v[12:13]
	s_waitcnt vmcnt(0)
	v_cmp_neq_f64_e64 s0, 0, v[14:15]
	s_delay_alu instid0(VALU_DEP_1) | instskip(NEXT) | instid1(SALU_CYCLE_1)
	s_or_b32 s0, vcc_lo, s0
	v_cndmask_b32_e64 v12, 0, 1, s0
	s_delay_alu instid0(VALU_DEP_1)
	v_add_co_u32 v4, vcc_lo, v4, v12
	v_add_co_ci_u32_e32 v5, vcc_lo, 0, v5, vcc_lo
.LBB34_88:
	s_or_b32 exec_lo, exec_lo, s4
	v_or_b32_e32 v12, 2, v16
	v_mov_b32_e32 v13, v17
	s_mov_b32 s4, exec_lo
	s_delay_alu instid0(VALU_DEP_1)
	v_cmpx_gt_i64_e64 s[18:19], v[12:13]
	s_cbranch_execz .LBB34_94
; %bb.89:
	s_and_not1_b32 vcc_lo, exec_lo, s1
	s_cbranch_vccnz .LBB34_91
; %bb.90:
	v_add_co_u32 v14, vcc_lo, v10, 32
	v_add_co_ci_u32_e32 v15, vcc_lo, 0, v11, vcc_lo
	v_add_co_u32 v21, vcc_lo, v10, 40
	v_add_co_ci_u32_e32 v22, vcc_lo, 0, v11, vcc_lo
	s_cbranch_execz .LBB34_92
	s_branch .LBB34_93
.LBB34_91:
                                        ; implicit-def: $vgpr14_vgpr15
                                        ; implicit-def: $vgpr21_vgpr22
.LBB34_92:
	v_mul_lo_u32 v15, v13, s22
	v_mul_lo_u32 v21, v12, s23
	v_mad_u64_u32 v[13:14], null, v12, s22, 0
	s_delay_alu instid0(VALU_DEP_1) | instskip(NEXT) | instid1(VALU_DEP_1)
	v_add3_u32 v14, v14, v21, v15
	v_lshlrev_b64 v[12:13], 4, v[13:14]
	s_delay_alu instid0(VALU_DEP_1) | instskip(NEXT) | instid1(VALU_DEP_2)
	v_add_co_u32 v12, vcc_lo, v18, v12
	v_add_co_ci_u32_e32 v13, vcc_lo, v23, v13, vcc_lo
	s_delay_alu instid0(VALU_DEP_2) | instskip(NEXT) | instid1(VALU_DEP_2)
	v_add_co_u32 v14, vcc_lo, 0x800, v12
	v_add_co_ci_u32_e32 v15, vcc_lo, 0, v13, vcc_lo
	v_add_co_u32 v21, vcc_lo, 0x808, v12
	v_add_co_ci_u32_e32 v22, vcc_lo, 0, v13, vcc_lo
.LBB34_93:
	global_load_b64 v[12:13], v[14:15], off
	global_load_b64 v[14:15], v[21:22], off
	s_waitcnt vmcnt(1)
	v_cmp_neq_f64_e32 vcc_lo, 0, v[12:13]
	s_waitcnt vmcnt(0)
	v_cmp_neq_f64_e64 s0, 0, v[14:15]
	s_delay_alu instid0(VALU_DEP_1) | instskip(NEXT) | instid1(SALU_CYCLE_1)
	s_or_b32 s0, vcc_lo, s0
	v_cndmask_b32_e64 v12, 0, 1, s0
	s_delay_alu instid0(VALU_DEP_1)
	v_add_co_u32 v4, vcc_lo, v4, v12
	v_add_co_ci_u32_e32 v5, vcc_lo, 0, v5, vcc_lo
.LBB34_94:
	s_or_b32 exec_lo, exec_lo, s4
	v_or_b32_e32 v12, 3, v16
	v_mov_b32_e32 v13, v17
	s_mov_b32 s4, exec_lo
	s_delay_alu instid0(VALU_DEP_1)
	v_cmpx_gt_i64_e64 s[18:19], v[12:13]
	s_cbranch_execz .LBB34_100
; %bb.95:
	s_and_not1_b32 vcc_lo, exec_lo, s1
	s_cbranch_vccnz .LBB34_97
; %bb.96:
	v_add_co_u32 v14, vcc_lo, v10, 48
	v_add_co_ci_u32_e32 v15, vcc_lo, 0, v11, vcc_lo
	v_add_co_u32 v10, vcc_lo, v10, 56
	v_add_co_ci_u32_e32 v11, vcc_lo, 0, v11, vcc_lo
	s_cbranch_execz .LBB34_98
	s_branch .LBB34_99
.LBB34_97:
                                        ; implicit-def: $vgpr14_vgpr15
                                        ; implicit-def: $vgpr10_vgpr11
.LBB34_98:
	v_mul_lo_u32 v13, v13, s22
	v_mul_lo_u32 v14, v12, s23
	v_mad_u64_u32 v[10:11], null, v12, s22, 0
	s_delay_alu instid0(VALU_DEP_1) | instskip(NEXT) | instid1(VALU_DEP_1)
	v_add3_u32 v11, v11, v14, v13
	v_lshlrev_b64 v[10:11], 4, v[10:11]
	s_delay_alu instid0(VALU_DEP_1) | instskip(NEXT) | instid1(VALU_DEP_2)
	v_add_co_u32 v10, vcc_lo, v18, v10
	v_add_co_ci_u32_e32 v11, vcc_lo, v23, v11, vcc_lo
	s_delay_alu instid0(VALU_DEP_2) | instskip(NEXT) | instid1(VALU_DEP_2)
	v_add_co_u32 v14, vcc_lo, 0x800, v10
	v_add_co_ci_u32_e32 v15, vcc_lo, 0, v11, vcc_lo
	v_add_co_u32 v10, vcc_lo, 0x808, v10
	v_add_co_ci_u32_e32 v11, vcc_lo, 0, v11, vcc_lo
.LBB34_99:
	global_load_b64 v[12:13], v[14:15], off
	global_load_b64 v[10:11], v[10:11], off
	s_waitcnt vmcnt(1)
	v_cmp_neq_f64_e32 vcc_lo, 0, v[12:13]
	s_waitcnt vmcnt(0)
	v_cmp_neq_f64_e64 s0, 0, v[10:11]
	s_delay_alu instid0(VALU_DEP_1) | instskip(NEXT) | instid1(SALU_CYCLE_1)
	s_or_b32 s0, vcc_lo, s0
	v_cndmask_b32_e64 v10, 0, 1, s0
	s_delay_alu instid0(VALU_DEP_1)
	v_add_co_u32 v4, vcc_lo, v4, v10
	v_add_co_ci_u32_e32 v5, vcc_lo, 0, v5, vcc_lo
.LBB34_100:
	s_or_b32 exec_lo, exec_lo, s4
.LBB34_101:
	s_delay_alu instid0(SALU_CYCLE_1) | instskip(SKIP_2) | instid1(VALU_DEP_1)
	s_or_b32 exec_lo, exec_lo, s3
	v_mov_b32_e32 v21, v19
	s_mov_b32 s3, exec_lo
	v_cmpx_gt_i64_e64 s[16:17], v[20:21]
	s_cbranch_execz .LBB34_125
; %bb.102:
	v_mad_u64_u32 v[10:11], null, v20, s22, 0
	s_mov_b32 s4, exec_lo
	s_delay_alu instid0(VALU_DEP_1) | instskip(NEXT) | instid1(VALU_DEP_1)
	v_mad_u64_u32 v[12:13], null, v20, s23, v[11:12]
	v_mov_b32_e32 v11, v12
	s_delay_alu instid0(VALU_DEP_1) | instskip(NEXT) | instid1(VALU_DEP_1)
	v_lshlrev_b64 v[10:11], 4, v[10:11]
	v_add_co_u32 v10, s0, v27, v10
	s_delay_alu instid0(VALU_DEP_1) | instskip(SKIP_1) | instid1(VALU_DEP_1)
	v_add_co_ci_u32_e64 v11, s0, v28, v11, s0
	v_add_co_u32 v18, s0, s20, v8
	v_add_co_ci_u32_e64 v19, s0, s21, v9, s0
	v_cmpx_gt_i64_e64 s[18:19], v[16:17]
	s_cbranch_execz .LBB34_106
; %bb.103:
	v_dual_mov_b32 v8, v10 :: v_dual_mov_b32 v9, v11
	s_and_not1_b32 vcc_lo, exec_lo, s2
	s_cbranch_vccnz .LBB34_105
; %bb.104:
	v_mul_lo_u32 v12, v17, s22
	v_mul_lo_u32 v13, v16, s23
	v_mad_u64_u32 v[8:9], null, v16, s22, 0
	s_delay_alu instid0(VALU_DEP_1) | instskip(NEXT) | instid1(VALU_DEP_1)
	v_add3_u32 v9, v9, v13, v12
	v_lshlrev_b64 v[8:9], 4, v[8:9]
	s_delay_alu instid0(VALU_DEP_1) | instskip(NEXT) | instid1(VALU_DEP_2)
	v_add_co_u32 v8, vcc_lo, v18, v8
	v_add_co_ci_u32_e32 v9, vcc_lo, v19, v9, vcc_lo
	s_delay_alu instid0(VALU_DEP_2) | instskip(NEXT) | instid1(VALU_DEP_2)
	v_add_co_u32 v8, vcc_lo, 0xc00, v8
	v_add_co_ci_u32_e32 v9, vcc_lo, 0, v9, vcc_lo
.LBB34_105:
	global_load_b128 v[12:15], v[8:9], off
	s_waitcnt vmcnt(0)
	v_cmp_neq_f64_e32 vcc_lo, 0, v[12:13]
	v_cmp_neq_f64_e64 s0, 0, v[14:15]
	s_delay_alu instid0(VALU_DEP_1) | instskip(NEXT) | instid1(SALU_CYCLE_1)
	s_or_b32 s0, vcc_lo, s0
	v_cndmask_b32_e64 v8, 0, 1, s0
	s_delay_alu instid0(VALU_DEP_1)
	v_add_co_u32 v6, vcc_lo, v6, v8
	v_add_co_ci_u32_e32 v7, vcc_lo, 0, v7, vcc_lo
.LBB34_106:
	s_or_b32 exec_lo, exec_lo, s4
	v_or_b32_e32 v8, 1, v16
	v_mov_b32_e32 v9, v17
	v_cndmask_b32_e64 v20, 0, 1, s1
	s_mov_b32 s2, exec_lo
	s_delay_alu instid0(VALU_DEP_2)
	v_cmpx_gt_i64_e64 s[18:19], v[8:9]
	s_cbranch_execz .LBB34_112
; %bb.107:
	s_and_not1_b32 vcc_lo, exec_lo, s1
	s_cbranch_vccnz .LBB34_109
; %bb.108:
	v_add_co_u32 v12, vcc_lo, v10, 16
	v_add_co_ci_u32_e32 v13, vcc_lo, 0, v11, vcc_lo
	v_add_co_u32 v14, vcc_lo, v10, 24
	v_add_co_ci_u32_e32 v15, vcc_lo, 0, v11, vcc_lo
	s_cbranch_execz .LBB34_110
	s_branch .LBB34_111
.LBB34_109:
                                        ; implicit-def: $vgpr12_vgpr13
                                        ; implicit-def: $vgpr14_vgpr15
.LBB34_110:
	v_mul_lo_u32 v9, v9, s22
	v_mul_lo_u32 v14, v8, s23
	v_mad_u64_u32 v[12:13], null, v8, s22, 0
	s_delay_alu instid0(VALU_DEP_1) | instskip(NEXT) | instid1(VALU_DEP_1)
	v_add3_u32 v13, v13, v14, v9
	v_lshlrev_b64 v[8:9], 4, v[12:13]
	s_delay_alu instid0(VALU_DEP_1) | instskip(NEXT) | instid1(VALU_DEP_2)
	v_add_co_u32 v8, vcc_lo, v18, v8
	v_add_co_ci_u32_e32 v9, vcc_lo, v19, v9, vcc_lo
	s_delay_alu instid0(VALU_DEP_2) | instskip(NEXT) | instid1(VALU_DEP_2)
	v_add_co_u32 v12, vcc_lo, 0xc00, v8
	v_add_co_ci_u32_e32 v13, vcc_lo, 0, v9, vcc_lo
	v_add_co_u32 v14, vcc_lo, 0xc08, v8
	v_add_co_ci_u32_e32 v15, vcc_lo, 0, v9, vcc_lo
.LBB34_111:
	global_load_b64 v[8:9], v[12:13], off
	global_load_b64 v[12:13], v[14:15], off
	s_waitcnt vmcnt(1)
	v_cmp_neq_f64_e32 vcc_lo, 0, v[8:9]
	s_waitcnt vmcnt(0)
	v_cmp_neq_f64_e64 s0, 0, v[12:13]
	s_delay_alu instid0(VALU_DEP_1) | instskip(NEXT) | instid1(SALU_CYCLE_1)
	s_or_b32 s0, vcc_lo, s0
	v_cndmask_b32_e64 v8, 0, 1, s0
	s_delay_alu instid0(VALU_DEP_1)
	v_add_co_u32 v6, vcc_lo, v6, v8
	v_add_co_ci_u32_e32 v7, vcc_lo, 0, v7, vcc_lo
.LBB34_112:
	s_or_b32 exec_lo, exec_lo, s2
	v_or_b32_e32 v8, 2, v16
	v_mov_b32_e32 v9, v17
	s_mov_b32 s1, exec_lo
	s_delay_alu instid0(VALU_DEP_1)
	v_cmpx_gt_i64_e64 s[18:19], v[8:9]
	s_cbranch_execz .LBB34_118
; %bb.113:
	v_cmp_ne_u32_e32 vcc_lo, 1, v20
	s_cbranch_vccnz .LBB34_115
; %bb.114:
	v_add_co_u32 v12, vcc_lo, v10, 32
	v_add_co_ci_u32_e32 v13, vcc_lo, 0, v11, vcc_lo
	v_add_co_u32 v14, vcc_lo, v10, 40
	v_add_co_ci_u32_e32 v15, vcc_lo, 0, v11, vcc_lo
	s_cbranch_execz .LBB34_116
	s_branch .LBB34_117
.LBB34_115:
                                        ; implicit-def: $vgpr12_vgpr13
                                        ; implicit-def: $vgpr14_vgpr15
.LBB34_116:
	v_mul_lo_u32 v9, v9, s22
	v_mul_lo_u32 v14, v8, s23
	v_mad_u64_u32 v[12:13], null, v8, s22, 0
	s_delay_alu instid0(VALU_DEP_1) | instskip(NEXT) | instid1(VALU_DEP_1)
	v_add3_u32 v13, v13, v14, v9
	v_lshlrev_b64 v[8:9], 4, v[12:13]
	s_delay_alu instid0(VALU_DEP_1) | instskip(NEXT) | instid1(VALU_DEP_2)
	v_add_co_u32 v8, vcc_lo, v18, v8
	v_add_co_ci_u32_e32 v9, vcc_lo, v19, v9, vcc_lo
	s_delay_alu instid0(VALU_DEP_2) | instskip(NEXT) | instid1(VALU_DEP_2)
	v_add_co_u32 v12, vcc_lo, 0xc00, v8
	v_add_co_ci_u32_e32 v13, vcc_lo, 0, v9, vcc_lo
	v_add_co_u32 v14, vcc_lo, 0xc08, v8
	v_add_co_ci_u32_e32 v15, vcc_lo, 0, v9, vcc_lo
.LBB34_117:
	global_load_b64 v[8:9], v[12:13], off
	global_load_b64 v[12:13], v[14:15], off
	s_waitcnt vmcnt(1)
	v_cmp_neq_f64_e32 vcc_lo, 0, v[8:9]
	s_waitcnt vmcnt(0)
	v_cmp_neq_f64_e64 s0, 0, v[12:13]
	s_delay_alu instid0(VALU_DEP_1) | instskip(NEXT) | instid1(SALU_CYCLE_1)
	s_or_b32 s0, vcc_lo, s0
	v_cndmask_b32_e64 v8, 0, 1, s0
	s_delay_alu instid0(VALU_DEP_1)
	v_add_co_u32 v6, vcc_lo, v6, v8
	v_add_co_ci_u32_e32 v7, vcc_lo, 0, v7, vcc_lo
.LBB34_118:
	s_or_b32 exec_lo, exec_lo, s1
	v_or_b32_e32 v16, 3, v16
	s_mov_b32 s1, exec_lo
	s_delay_alu instid0(VALU_DEP_1)
	v_cmpx_gt_i64_e64 s[18:19], v[16:17]
	s_cbranch_execz .LBB34_124
; %bb.119:
	v_cmp_ne_u32_e32 vcc_lo, 1, v20
	s_cbranch_vccnz .LBB34_121
; %bb.120:
	v_add_co_u32 v8, vcc_lo, v10, 48
	v_add_co_ci_u32_e32 v9, vcc_lo, 0, v11, vcc_lo
	v_add_co_u32 v10, vcc_lo, v10, 56
	v_add_co_ci_u32_e32 v11, vcc_lo, 0, v11, vcc_lo
	s_cbranch_execz .LBB34_122
	s_branch .LBB34_123
.LBB34_121:
                                        ; implicit-def: $vgpr8_vgpr9
                                        ; implicit-def: $vgpr10_vgpr11
.LBB34_122:
	v_mul_lo_u32 v10, v17, s22
	v_mul_lo_u32 v11, v16, s23
	v_mad_u64_u32 v[8:9], null, v16, s22, 0
	s_delay_alu instid0(VALU_DEP_1) | instskip(NEXT) | instid1(VALU_DEP_1)
	v_add3_u32 v9, v9, v11, v10
	v_lshlrev_b64 v[8:9], 4, v[8:9]
	s_delay_alu instid0(VALU_DEP_1) | instskip(NEXT) | instid1(VALU_DEP_2)
	v_add_co_u32 v10, vcc_lo, v18, v8
	v_add_co_ci_u32_e32 v11, vcc_lo, v19, v9, vcc_lo
	s_delay_alu instid0(VALU_DEP_2) | instskip(NEXT) | instid1(VALU_DEP_2)
	v_add_co_u32 v8, vcc_lo, 0xc00, v10
	v_add_co_ci_u32_e32 v9, vcc_lo, 0, v11, vcc_lo
	v_add_co_u32 v10, vcc_lo, 0xc08, v10
	v_add_co_ci_u32_e32 v11, vcc_lo, 0, v11, vcc_lo
.LBB34_123:
	global_load_b64 v[8:9], v[8:9], off
	global_load_b64 v[10:11], v[10:11], off
	s_waitcnt vmcnt(1)
	v_cmp_neq_f64_e32 vcc_lo, 0, v[8:9]
	s_waitcnt vmcnt(0)
	v_cmp_neq_f64_e64 s0, 0, v[10:11]
	s_delay_alu instid0(VALU_DEP_1) | instskip(NEXT) | instid1(SALU_CYCLE_1)
	s_or_b32 s0, vcc_lo, s0
	v_cndmask_b32_e64 v8, 0, 1, s0
	s_delay_alu instid0(VALU_DEP_1)
	v_add_co_u32 v6, vcc_lo, v6, v8
	v_add_co_ci_u32_e32 v7, vcc_lo, 0, v7, vcc_lo
.LBB34_124:
	s_or_b32 exec_lo, exec_lo, s1
.LBB34_125:
	s_delay_alu instid0(SALU_CYCLE_1)
	s_or_b32 exec_lo, exec_lo, s3
.LBB34_126:
	v_lshlrev_b32_e32 v8, 2, v30
	s_mov_b32 s0, exec_lo
	s_delay_alu instid0(VALU_DEP_1) | instskip(NEXT) | instid1(VALU_DEP_1)
	v_and_or_b32 v8, 0x1fffff00, v8, v31
	v_lshlrev_b32_e32 v8, 3, v8
	ds_store_2addr_stride64_b64 v8, v[0:1], v[2:3] offset1:1
	ds_store_2addr_stride64_b64 v8, v[4:5], v[6:7] offset0:2 offset1:3
	s_waitcnt lgkmcnt(0)
	s_barrier
	buffer_gl0_inv
	v_cmpx_gt_u32_e32 0x100, v30
	s_cbranch_execz .LBB34_129
; %bb.127:
	v_lshlrev_b32_e32 v12, 3, v30
	ds_load_2addr_stride64_b64 v[0:3], v12 offset1:4
	ds_load_2addr_stride64_b64 v[4:7], v12 offset0:8 offset1:12
	ds_load_2addr_stride64_b64 v[8:11], v12 offset0:16 offset1:20
	s_waitcnt lgkmcnt(2)
	v_add_co_u32 v13, vcc_lo, v0, v2
	v_add_co_ci_u32_e32 v14, vcc_lo, v1, v3, vcc_lo
	ds_load_2addr_stride64_b64 v[0:3], v12 offset0:24 offset1:28
	s_waitcnt lgkmcnt(2)
	v_add_co_u32 v4, vcc_lo, v13, v4
	v_add_co_ci_u32_e32 v5, vcc_lo, v14, v5, vcc_lo
	s_delay_alu instid0(VALU_DEP_2) | instskip(NEXT) | instid1(VALU_DEP_2)
	v_add_co_u32 v13, vcc_lo, v4, v6
	v_add_co_ci_u32_e32 v14, vcc_lo, v5, v7, vcc_lo
	ds_load_2addr_stride64_b64 v[4:7], v12 offset0:32 offset1:36
	s_waitcnt lgkmcnt(2)
	v_add_co_u32 v8, vcc_lo, v13, v8
	v_add_co_ci_u32_e32 v9, vcc_lo, v14, v9, vcc_lo
	s_delay_alu instid0(VALU_DEP_2) | instskip(NEXT) | instid1(VALU_DEP_2)
	;; [unrolled: 7-line block ×5, first 2 shown]
	v_add_co_u32 v8, vcc_lo, v8, v10
	v_add_co_ci_u32_e32 v9, vcc_lo, v9, v11, vcc_lo
	s_waitcnt lgkmcnt(1)
	s_delay_alu instid0(VALU_DEP_2) | instskip(NEXT) | instid1(VALU_DEP_2)
	v_add_co_u32 v0, vcc_lo, v8, v0
	v_add_co_ci_u32_e32 v1, vcc_lo, v9, v1, vcc_lo
	s_delay_alu instid0(VALU_DEP_2) | instskip(NEXT) | instid1(VALU_DEP_2)
	v_add_co_u32 v0, vcc_lo, v0, v2
	v_add_co_ci_u32_e32 v1, vcc_lo, v1, v3, vcc_lo
	v_add_co_u32 v2, s0, v30, s11
	s_waitcnt lgkmcnt(0)
	s_delay_alu instid0(VALU_DEP_3) | instskip(NEXT) | instid1(VALU_DEP_3)
	v_add_co_u32 v0, vcc_lo, v0, v4
	v_add_co_ci_u32_e32 v1, vcc_lo, v1, v5, vcc_lo
	v_add_co_ci_u32_e64 v3, null, 0, 0, s0
	s_delay_alu instid0(VALU_DEP_3) | instskip(NEXT) | instid1(VALU_DEP_3)
	v_add_co_u32 v0, vcc_lo, v0, v6
	v_add_co_ci_u32_e32 v1, vcc_lo, v1, v7, vcc_lo
	s_delay_alu instid0(VALU_DEP_3)
	v_cmp_gt_i64_e32 vcc_lo, s[16:17], v[2:3]
	ds_store_b64 v12, v[0:1]
	s_and_b32 exec_lo, exec_lo, vcc_lo
	s_cbranch_execz .LBB34_129
; %bb.128:
	v_lshlrev_b64 v[2:3], 3, v[2:3]
	s_delay_alu instid0(VALU_DEP_1) | instskip(NEXT) | instid1(VALU_DEP_2)
	v_add_co_u32 v2, vcc_lo, s12, v2
	v_add_co_ci_u32_e32 v3, vcc_lo, s13, v3, vcc_lo
	global_store_b64 v[2:3], v[0:1], off
.LBB34_129:
	s_nop 0
	s_sendmsg sendmsg(MSG_DEALLOC_VGPRS)
	s_endpgm
	.section	.rodata,"a",@progbits
	.p2align	6, 0x0
	.amdhsa_kernel _ZN9rocsparseL14nnz_kernel_rowILi64ELi16Ell21rocsparse_complex_numIdEEEv16rocsparse_order_T2_S4_PKT3_lPT1_
		.amdhsa_group_segment_fixed_size 32768
		.amdhsa_private_segment_fixed_size 0
		.amdhsa_kernarg_size 304
		.amdhsa_user_sgpr_count 15
		.amdhsa_user_sgpr_dispatch_ptr 0
		.amdhsa_user_sgpr_queue_ptr 0
		.amdhsa_user_sgpr_kernarg_segment_ptr 1
		.amdhsa_user_sgpr_dispatch_id 0
		.amdhsa_user_sgpr_private_segment_size 0
		.amdhsa_wavefront_size32 1
		.amdhsa_uses_dynamic_stack 0
		.amdhsa_enable_private_segment 0
		.amdhsa_system_sgpr_workgroup_id_x 1
		.amdhsa_system_sgpr_workgroup_id_y 0
		.amdhsa_system_sgpr_workgroup_id_z 0
		.amdhsa_system_sgpr_workgroup_info 0
		.amdhsa_system_vgpr_workitem_id 1
		.amdhsa_next_free_vgpr 49
		.amdhsa_next_free_sgpr 37
		.amdhsa_reserve_vcc 1
		.amdhsa_float_round_mode_32 0
		.amdhsa_float_round_mode_16_64 0
		.amdhsa_float_denorm_mode_32 3
		.amdhsa_float_denorm_mode_16_64 3
		.amdhsa_dx10_clamp 1
		.amdhsa_ieee_mode 1
		.amdhsa_fp16_overflow 0
		.amdhsa_workgroup_processor_mode 1
		.amdhsa_memory_ordered 1
		.amdhsa_forward_progress 0
		.amdhsa_shared_vgpr_count 0
		.amdhsa_exception_fp_ieee_invalid_op 0
		.amdhsa_exception_fp_denorm_src 0
		.amdhsa_exception_fp_ieee_div_zero 0
		.amdhsa_exception_fp_ieee_overflow 0
		.amdhsa_exception_fp_ieee_underflow 0
		.amdhsa_exception_fp_ieee_inexact 0
		.amdhsa_exception_int_div_zero 0
	.end_amdhsa_kernel
	.section	.text._ZN9rocsparseL14nnz_kernel_rowILi64ELi16Ell21rocsparse_complex_numIdEEEv16rocsparse_order_T2_S4_PKT3_lPT1_,"axG",@progbits,_ZN9rocsparseL14nnz_kernel_rowILi64ELi16Ell21rocsparse_complex_numIdEEEv16rocsparse_order_T2_S4_PKT3_lPT1_,comdat
.Lfunc_end34:
	.size	_ZN9rocsparseL14nnz_kernel_rowILi64ELi16Ell21rocsparse_complex_numIdEEEv16rocsparse_order_T2_S4_PKT3_lPT1_, .Lfunc_end34-_ZN9rocsparseL14nnz_kernel_rowILi64ELi16Ell21rocsparse_complex_numIdEEEv16rocsparse_order_T2_S4_PKT3_lPT1_
                                        ; -- End function
	.section	.AMDGPU.csdata,"",@progbits
; Kernel info:
; codeLenInByte = 7964
; NumSgprs: 39
; NumVgprs: 49
; ScratchSize: 0
; MemoryBound: 0
; FloatMode: 240
; IeeeMode: 1
; LDSByteSize: 32768 bytes/workgroup (compile time only)
; SGPRBlocks: 4
; VGPRBlocks: 6
; NumSGPRsForWavesPerEU: 39
; NumVGPRsForWavesPerEU: 49
; Occupancy: 16
; WaveLimiterHint : 0
; COMPUTE_PGM_RSRC2:SCRATCH_EN: 0
; COMPUTE_PGM_RSRC2:USER_SGPR: 15
; COMPUTE_PGM_RSRC2:TRAP_HANDLER: 0
; COMPUTE_PGM_RSRC2:TGID_X_EN: 1
; COMPUTE_PGM_RSRC2:TGID_Y_EN: 0
; COMPUTE_PGM_RSRC2:TGID_Z_EN: 0
; COMPUTE_PGM_RSRC2:TIDIG_COMP_CNT: 1
	.section	.text._ZN9rocsparseL14nnz_kernel_colILi256Ell21rocsparse_complex_numIdEEEv16rocsparse_order_T1_S4_PKT2_lPT0_,"axG",@progbits,_ZN9rocsparseL14nnz_kernel_colILi256Ell21rocsparse_complex_numIdEEEv16rocsparse_order_T1_S4_PKT2_lPT0_,comdat
	.globl	_ZN9rocsparseL14nnz_kernel_colILi256Ell21rocsparse_complex_numIdEEEv16rocsparse_order_T1_S4_PKT2_lPT0_ ; -- Begin function _ZN9rocsparseL14nnz_kernel_colILi256Ell21rocsparse_complex_numIdEEEv16rocsparse_order_T1_S4_PKT2_lPT0_
	.p2align	8
	.type	_ZN9rocsparseL14nnz_kernel_colILi256Ell21rocsparse_complex_numIdEEEv16rocsparse_order_T1_S4_PKT2_lPT0_,@function
_ZN9rocsparseL14nnz_kernel_colILi256Ell21rocsparse_complex_numIdEEEv16rocsparse_order_T1_S4_PKT2_lPT0_: ; @_ZN9rocsparseL14nnz_kernel_colILi256Ell21rocsparse_complex_numIdEEEv16rocsparse_order_T1_S4_PKT2_lPT0_
; %bb.0:
	s_clause 0x2
	s_load_b64 s[10:11], s[0:1], 0x8
	s_load_b32 s3, s[0:1], 0x0
	s_load_b128 s[4:7], s[0:1], 0x18
	v_mov_b32_e32 v1, 0
	s_mov_b32 s8, s15
	s_waitcnt lgkmcnt(0)
	s_ashr_i32 s2, s11, 31
	s_delay_alu instid0(SALU_CYCLE_1) | instskip(NEXT) | instid1(SALU_CYCLE_1)
	s_lshr_b32 s2, s2, 24
	s_add_u32 s9, s10, s2
	v_cmp_gt_i64_e64 s2, 0x100, s[10:11]
	s_addc_u32 s13, s11, 0
	s_and_b32 s12, s9, 0xffffff00
	s_cmp_eq_u32 s3, 1
	s_mov_b32 s9, 0
	s_cbranch_scc1 .LBB35_6
; %bb.1:
	v_mov_b32_e32 v2, 0
	v_mov_b32_e32 v3, 0
	s_and_b32 vcc_lo, exec_lo, s2
	s_cbranch_vccnz .LBB35_7
; %bb.2:
	v_mad_u64_u32 v[2:3], null, s6, v0, 0
	s_lshl_b64 s[2:3], s[8:9], 4
	s_mov_b64 s[16:17], 0
	s_add_u32 s2, s4, s2
	s_addc_u32 s3, s5, s3
	s_lshl_b64 s[14:15], s[6:7], 12
	s_delay_alu instid0(VALU_DEP_1) | instskip(NEXT) | instid1(VALU_DEP_1)
	v_mad_u64_u32 v[4:5], null, s7, v0, v[3:4]
	v_mov_b32_e32 v3, v4
	s_delay_alu instid0(VALU_DEP_1) | instskip(NEXT) | instid1(VALU_DEP_1)
	v_lshlrev_b64 v[2:3], 4, v[2:3]
	v_add_co_u32 v4, vcc_lo, s2, v2
	s_delay_alu instid0(VALU_DEP_2) | instskip(SKIP_1) | instid1(VALU_DEP_3)
	v_add_co_ci_u32_e32 v5, vcc_lo, s3, v3, vcc_lo
	v_mov_b32_e32 v2, 0
	v_add_co_u32 v4, vcc_lo, v4, 8
	v_mov_b32_e32 v3, 0
	s_delay_alu instid0(VALU_DEP_4)
	v_add_co_ci_u32_e32 v5, vcc_lo, 0, v5, vcc_lo
	s_set_inst_prefetch_distance 0x1
	s_branch .LBB35_4
	.p2align	6
.LBB35_3:                               ;   in Loop: Header=BB35_4 Depth=1
	s_or_b32 exec_lo, exec_lo, s3
	s_add_u32 s16, s16, 0x100
	s_addc_u32 s17, s17, 0
	v_add_co_u32 v4, vcc_lo, v4, s14
	v_cmp_ge_i64_e64 s2, s[16:17], s[12:13]
	v_add_co_ci_u32_e32 v5, vcc_lo, s15, v5, vcc_lo
	s_delay_alu instid0(VALU_DEP_2)
	s_and_b32 vcc_lo, exec_lo, s2
	s_cbranch_vccnz .LBB35_7
.LBB35_4:                               ; =>This Inner Loop Header: Depth=1
	v_add_co_u32 v6, s2, v0, s16
	s_delay_alu instid0(VALU_DEP_1) | instskip(SKIP_1) | instid1(VALU_DEP_1)
	v_add_co_ci_u32_e64 v7, null, 0, s17, s2
	s_mov_b32 s3, exec_lo
	v_cmpx_gt_i64_e64 s[10:11], v[6:7]
	s_cbranch_execz .LBB35_3
; %bb.5:                                ;   in Loop: Header=BB35_4 Depth=1
	global_load_b128 v[6:9], v[4:5], off offset:-8
	s_waitcnt vmcnt(0)
	v_cmp_neq_f64_e32 vcc_lo, 0, v[6:7]
	v_cmp_neq_f64_e64 s2, 0, v[8:9]
	s_delay_alu instid0(VALU_DEP_1) | instskip(NEXT) | instid1(SALU_CYCLE_1)
	s_or_b32 s2, vcc_lo, s2
	v_cndmask_b32_e64 v6, 0, 1, s2
	s_delay_alu instid0(VALU_DEP_1)
	v_add_co_u32 v2, vcc_lo, v2, v6
	v_add_co_ci_u32_e32 v3, vcc_lo, 0, v3, vcc_lo
	s_branch .LBB35_3
.LBB35_6:
	s_mov_b32 s16, s9
                                        ; implicit-def: $vgpr2_vgpr3
                                        ; implicit-def: $vgpr4_vgpr5
	s_cbranch_execnz .LBB35_10
	s_branch .LBB35_16
.LBB35_7:
	s_set_inst_prefetch_distance 0x2
	v_add_co_u32 v6, s2, s12, v0
	s_delay_alu instid0(VALU_DEP_1) | instskip(SKIP_3) | instid1(VALU_DEP_1)
	v_add_co_ci_u32_e64 v7, null, s13, 0, s2
	s_mov_b32 s2, 0
	s_mov_b32 s16, 0
	s_mov_b32 s3, exec_lo
                                        ; implicit-def: $vgpr4_vgpr5
	v_cmpx_gt_i64_e64 s[10:11], v[6:7]
	s_xor_b32 s3, exec_lo, s3
; %bb.8:
	v_mul_lo_u32 v7, v7, s6
	v_mul_lo_u32 v8, v6, s7
	v_mad_u64_u32 v[4:5], null, v6, s6, 0
	s_lshl_b64 s[14:15], s[8:9], 4
	s_mov_b32 s16, exec_lo
	s_add_u32 s14, s14, s4
	s_addc_u32 s15, s15, s5
	s_delay_alu instid0(VALU_DEP_1) | instskip(NEXT) | instid1(VALU_DEP_1)
	v_add3_u32 v5, v5, v8, v7
	v_lshlrev_b64 v[4:5], 4, v[4:5]
	s_delay_alu instid0(VALU_DEP_1) | instskip(NEXT) | instid1(VALU_DEP_2)
	v_add_co_u32 v4, vcc_lo, s14, v4
	v_add_co_ci_u32_e32 v5, vcc_lo, s15, v5, vcc_lo
; %bb.9:
	s_or_b32 exec_lo, exec_lo, s3
	s_delay_alu instid0(SALU_CYCLE_1)
	s_and_b32 vcc_lo, exec_lo, s2
	s_cbranch_vccz .LBB35_16
.LBB35_10:
	v_cmp_gt_i64_e32 vcc_lo, s[10:11], v[0:1]
	v_cmp_gt_i64_e64 s3, 0x100, s[10:11]
	s_mul_i32 s2, s8, s7
	s_mul_hi_u32 s7, s8, s6
	s_mul_i32 s6, s8, s6
	s_add_i32 s7, s7, s2
	v_dual_cndmask_b32 v1, 0, v0 :: v_dual_mov_b32 v2, 0
	v_mov_b32_e32 v3, 0
	s_and_b32 vcc_lo, exec_lo, s3
	s_delay_alu instid0(VALU_DEP_2)
	v_lshlrev_b32_e32 v1, 4, v1
	s_cbranch_vccnz .LBB35_13
; %bb.11:
	s_lshl_b64 s[2:3], s[6:7], 4
	v_mov_b32_e32 v2, 0
	s_add_u32 s2, s4, s2
	s_addc_u32 s3, s5, s3
	v_add_co_u32 v4, s2, s2, v1
	s_delay_alu instid0(VALU_DEP_1) | instskip(SKIP_1) | instid1(VALU_DEP_3)
	v_add_co_ci_u32_e64 v5, null, s3, 0, s2
	v_mov_b32_e32 v3, 0
	v_add_co_u32 v4, vcc_lo, v4, 8
	s_delay_alu instid0(VALU_DEP_3)
	v_add_co_ci_u32_e32 v5, vcc_lo, 0, v5, vcc_lo
	s_mov_b64 s[14:15], 0
	.p2align	6
.LBB35_12:                              ; =>This Inner Loop Header: Depth=1
	global_load_b128 v[6:9], v[4:5], off offset:-8
	v_add_co_u32 v4, s3, 0x1000, v4
	s_delay_alu instid0(VALU_DEP_1) | instskip(SKIP_3) | instid1(VALU_DEP_1)
	v_add_co_ci_u32_e64 v5, s3, 0, v5, s3
	s_waitcnt vmcnt(0)
	v_cmp_neq_f64_e32 vcc_lo, 0, v[6:7]
	v_cmp_neq_f64_e64 s2, 0, v[8:9]
	s_or_b32 s2, vcc_lo, s2
	s_add_u32 s14, s14, 0x100
	v_cndmask_b32_e64 v6, 0, 1, s2
	s_addc_u32 s15, s15, 0
	s_delay_alu instid0(SALU_CYCLE_1) | instskip(NEXT) | instid1(VALU_DEP_2)
	v_cmp_ge_i64_e64 s3, s[14:15], s[12:13]
	v_add_co_u32 v2, vcc_lo, v2, v6
	v_add_co_ci_u32_e32 v3, vcc_lo, 0, v3, vcc_lo
	s_delay_alu instid0(VALU_DEP_3)
	s_and_b32 vcc_lo, exec_lo, s3
	s_cbranch_vccz .LBB35_12
.LBB35_13:
	v_add_co_u32 v4, s2, s12, v0
	s_delay_alu instid0(VALU_DEP_1) | instskip(NEXT) | instid1(VALU_DEP_1)
	v_add_co_ci_u32_e64 v5, null, s13, 0, s2
	v_cmp_gt_i64_e32 vcc_lo, s[10:11], v[4:5]
                                        ; implicit-def: $vgpr4_vgpr5
	s_and_saveexec_b32 s2, vcc_lo
; %bb.14:
	s_lshl_b64 s[6:7], s[6:7], 4
	s_delay_alu instid0(SALU_CYCLE_1) | instskip(SKIP_2) | instid1(SALU_CYCLE_1)
	s_add_u32 s3, s4, s6
	s_addc_u32 s6, s5, s7
	s_lshl_b64 s[4:5], s[12:13], 4
	s_add_u32 s3, s4, s3
	s_addc_u32 s4, s5, s6
	v_add_co_u32 v4, s3, s3, v1
	s_delay_alu instid0(VALU_DEP_1)
	v_add_co_ci_u32_e64 v5, null, s4, 0, s3
	s_or_b32 s16, s16, exec_lo
; %bb.15:
	s_or_b32 exec_lo, exec_lo, s2
.LBB35_16:
	s_and_saveexec_b32 s3, s16
	s_cbranch_execz .LBB35_18
; %bb.17:
	global_load_b128 v[4:7], v[4:5], off
	s_waitcnt vmcnt(0)
	v_cmp_neq_f64_e32 vcc_lo, 0, v[4:5]
	v_cmp_neq_f64_e64 s2, 0, v[6:7]
	s_delay_alu instid0(VALU_DEP_1) | instskip(NEXT) | instid1(SALU_CYCLE_1)
	s_or_b32 s2, vcc_lo, s2
	v_cndmask_b32_e64 v1, 0, 1, s2
	s_delay_alu instid0(VALU_DEP_1)
	v_add_co_u32 v2, vcc_lo, v2, v1
	v_add_co_ci_u32_e32 v3, vcc_lo, 0, v3, vcc_lo
.LBB35_18:
	s_or_b32 exec_lo, exec_lo, s3
	v_cmp_gt_i64_e64 s2, 0x100, s[10:11]
	v_lshlrev_b32_e32 v4, 3, v0
	s_mov_b32 s3, -1
	ds_store_b64 v4, v[2:3]
	s_and_b32 vcc_lo, exec_lo, s2
	v_cmp_eq_u32_e64 s2, 0, v0
	s_waitcnt lgkmcnt(0)
	s_cbranch_vccz .LBB35_28
; %bb.19:
	v_cmp_gt_i64_e64 s3, s[10:11], 1
	s_mov_b64 s[4:5], 1
	s_barrier
	buffer_gl0_inv
	s_and_b32 s2, s2, s3
	s_delay_alu instid0(SALU_CYCLE_1)
	s_and_saveexec_b32 s5, s2
	s_cbranch_execz .LBB35_27
; %bb.20:
	v_mov_b32_e32 v1, 0
	s_add_u32 s12, s10, -1
	s_addc_u32 s3, s11, -1
	s_add_u32 s6, s10, -2
	s_addc_u32 s7, s11, -1
	ds_load_b64 v[1:2], v1
	v_cmp_lt_u64_e64 s2, s[6:7], 7
	s_delay_alu instid0(VALU_DEP_1)
	s_and_b32 vcc_lo, exec_lo, s2
	s_cbranch_vccnz .LBB35_23
; %bb.21:
	s_and_b32 s2, s12, -8
	s_mov_b64 s[6:7], 0
	s_mov_b32 s10, 8
	s_set_inst_prefetch_distance 0x1
	.p2align	6
.LBB35_22:                              ; =>This Inner Loop Header: Depth=1
	v_mov_b32_e32 v3, s10
	s_add_u32 s14, s6, 8
	s_addc_u32 s15, s7, 0
	s_add_i32 s10, s10, 64
	s_add_u32 s4, s6, 9
	ds_load_2addr_b64 v[5:8], v3 offset1:1
	ds_load_2addr_b64 v[9:12], v3 offset0:2 offset1:3
	ds_load_2addr_b64 v[13:16], v3 offset0:4 offset1:5
	s_cmp_lg_u64 s[2:3], s[14:15]
	s_mov_b64 s[6:7], s[14:15]
	s_waitcnt lgkmcnt(2)
	v_add_co_u32 v1, vcc_lo, v1, v5
	v_add_co_ci_u32_e32 v2, vcc_lo, v2, v6, vcc_lo
	s_delay_alu instid0(VALU_DEP_2) | instskip(NEXT) | instid1(VALU_DEP_2)
	v_add_co_u32 v1, vcc_lo, v1, v7
	v_add_co_ci_u32_e32 v2, vcc_lo, v2, v8, vcc_lo
	ds_load_2addr_b64 v[5:8], v3 offset0:6 offset1:7
	s_waitcnt lgkmcnt(2)
	v_add_co_u32 v1, vcc_lo, v1, v9
	v_add_co_ci_u32_e32 v2, vcc_lo, v2, v10, vcc_lo
	s_delay_alu instid0(VALU_DEP_2) | instskip(NEXT) | instid1(VALU_DEP_2)
	v_add_co_u32 v1, vcc_lo, v1, v11
	v_add_co_ci_u32_e32 v2, vcc_lo, v2, v12, vcc_lo
	s_waitcnt lgkmcnt(1)
	s_delay_alu instid0(VALU_DEP_2) | instskip(NEXT) | instid1(VALU_DEP_2)
	v_add_co_u32 v1, vcc_lo, v1, v13
	v_add_co_ci_u32_e32 v2, vcc_lo, v2, v14, vcc_lo
	s_delay_alu instid0(VALU_DEP_2) | instskip(NEXT) | instid1(VALU_DEP_2)
	v_add_co_u32 v1, vcc_lo, v1, v15
	v_add_co_ci_u32_e32 v2, vcc_lo, v2, v16, vcc_lo
	s_waitcnt lgkmcnt(0)
	s_delay_alu instid0(VALU_DEP_2) | instskip(NEXT) | instid1(VALU_DEP_2)
	v_add_co_u32 v1, vcc_lo, v1, v5
	v_add_co_ci_u32_e32 v2, vcc_lo, v2, v6, vcc_lo
	s_delay_alu instid0(VALU_DEP_2) | instskip(NEXT) | instid1(VALU_DEP_2)
	v_add_co_u32 v1, vcc_lo, v1, v7
	v_add_co_ci_u32_e32 v2, vcc_lo, v2, v8, vcc_lo
	s_cbranch_scc1 .LBB35_22
.LBB35_23:
	s_set_inst_prefetch_distance 0x2
	s_and_b32 s2, s12, 7
	s_mov_b32 s3, 0
	s_delay_alu instid0(SALU_CYCLE_1)
	s_cmp_eq_u64 s[2:3], 0
	s_cbranch_scc1 .LBB35_26
; %bb.24:
	s_lshl_b32 s4, s4, 3
.LBB35_25:                              ; =>This Inner Loop Header: Depth=1
	s_delay_alu instid0(SALU_CYCLE_1) | instskip(SKIP_3) | instid1(SALU_CYCLE_1)
	v_mov_b32_e32 v3, s4
	s_add_i32 s4, s4, 8
	s_add_u32 s2, s2, -1
	s_addc_u32 s3, s3, -1
	s_cmp_lg_u64 s[2:3], 0
	ds_load_b64 v[5:6], v3
	s_waitcnt lgkmcnt(0)
	v_add_co_u32 v1, vcc_lo, v1, v5
	v_add_co_ci_u32_e32 v2, vcc_lo, v2, v6, vcc_lo
	s_cbranch_scc1 .LBB35_25
.LBB35_26:
	v_mov_b32_e32 v3, 0
	s_waitcnt lgkmcnt(0)
	ds_store_b64 v3, v[1:2]
.LBB35_27:
	s_or_b32 exec_lo, exec_lo, s5
	s_mov_b32 s3, 0
	s_waitcnt lgkmcnt(0)
	s_barrier
.LBB35_28:
	s_and_b32 vcc_lo, exec_lo, s3
	s_cbranch_vccz .LBB35_46
; %bb.29:
	s_mov_b32 s2, exec_lo
	s_barrier
	buffer_gl0_inv
	v_cmpx_gt_u32_e32 0x80, v0
	s_cbranch_execz .LBB35_31
; %bb.30:
	ds_load_2addr_stride64_b64 v[5:8], v4 offset1:2
	s_waitcnt lgkmcnt(0)
	v_add_co_u32 v1, vcc_lo, v5, v7
	v_add_co_ci_u32_e32 v2, vcc_lo, v6, v8, vcc_lo
	ds_store_b64 v4, v[1:2]
.LBB35_31:
	s_or_b32 exec_lo, exec_lo, s2
	s_delay_alu instid0(SALU_CYCLE_1)
	s_mov_b32 s2, exec_lo
	s_waitcnt lgkmcnt(0)
	s_barrier
	buffer_gl0_inv
	v_cmpx_gt_u32_e32 64, v0
	s_cbranch_execz .LBB35_33
; %bb.32:
	ds_load_2addr_stride64_b64 v[5:8], v4 offset1:1
	s_waitcnt lgkmcnt(0)
	v_add_co_u32 v1, vcc_lo, v5, v7
	v_add_co_ci_u32_e32 v2, vcc_lo, v6, v8, vcc_lo
	ds_store_b64 v4, v[1:2]
.LBB35_33:
	s_or_b32 exec_lo, exec_lo, s2
	s_delay_alu instid0(SALU_CYCLE_1)
	s_mov_b32 s2, exec_lo
	s_waitcnt lgkmcnt(0)
	s_barrier
	buffer_gl0_inv
	v_cmpx_gt_u32_e32 32, v0
	s_cbranch_execz .LBB35_35
; %bb.34:
	ds_load_2addr_b64 v[5:8], v4 offset1:32
	s_waitcnt lgkmcnt(0)
	v_add_co_u32 v1, vcc_lo, v5, v7
	v_add_co_ci_u32_e32 v2, vcc_lo, v6, v8, vcc_lo
	ds_store_b64 v4, v[1:2]
.LBB35_35:
	s_or_b32 exec_lo, exec_lo, s2
	s_delay_alu instid0(SALU_CYCLE_1)
	s_mov_b32 s2, exec_lo
	s_waitcnt lgkmcnt(0)
	s_barrier
	buffer_gl0_inv
	v_cmpx_gt_u32_e32 16, v0
	s_cbranch_execz .LBB35_37
; %bb.36:
	ds_load_2addr_b64 v[5:8], v4 offset1:16
	s_waitcnt lgkmcnt(0)
	v_add_co_u32 v1, vcc_lo, v5, v7
	v_add_co_ci_u32_e32 v2, vcc_lo, v6, v8, vcc_lo
	ds_store_b64 v4, v[1:2]
.LBB35_37:
	;; [unrolled: 15-line block ×5, first 2 shown]
	s_or_b32 exec_lo, exec_lo, s2
	s_delay_alu instid0(SALU_CYCLE_1)
	s_mov_b32 s2, exec_lo
	s_waitcnt lgkmcnt(0)
	s_barrier
	buffer_gl0_inv
	v_cmpx_eq_u32_e32 0, v0
	s_cbranch_execz .LBB35_45
; %bb.44:
	v_mov_b32_e32 v5, 0
	ds_load_b128 v[1:4], v5
	s_waitcnt lgkmcnt(0)
	v_add_co_u32 v1, vcc_lo, v1, v3
	v_add_co_ci_u32_e32 v2, vcc_lo, v2, v4, vcc_lo
	ds_store_b64 v5, v[1:2]
.LBB35_45:
	s_or_b32 exec_lo, exec_lo, s2
	s_waitcnt lgkmcnt(0)
	s_barrier
.LBB35_46:
	buffer_gl0_inv
	s_mov_b32 s2, exec_lo
	v_cmpx_eq_u32_e32 0, v0
	s_cbranch_execz .LBB35_48
; %bb.47:
	v_mov_b32_e32 v2, 0
	s_load_b64 s[0:1], s[0:1], 0x28
	s_lshl_b64 s[2:3], s[8:9], 3
	ds_load_b64 v[0:1], v2
	s_waitcnt lgkmcnt(0)
	s_add_u32 s0, s0, s2
	s_addc_u32 s1, s1, s3
	global_store_b64 v2, v[0:1], s[0:1]
.LBB35_48:
	s_nop 0
	s_sendmsg sendmsg(MSG_DEALLOC_VGPRS)
	s_endpgm
	.section	.rodata,"a",@progbits
	.p2align	6, 0x0
	.amdhsa_kernel _ZN9rocsparseL14nnz_kernel_colILi256Ell21rocsparse_complex_numIdEEEv16rocsparse_order_T1_S4_PKT2_lPT0_
		.amdhsa_group_segment_fixed_size 2048
		.amdhsa_private_segment_fixed_size 0
		.amdhsa_kernarg_size 48
		.amdhsa_user_sgpr_count 15
		.amdhsa_user_sgpr_dispatch_ptr 0
		.amdhsa_user_sgpr_queue_ptr 0
		.amdhsa_user_sgpr_kernarg_segment_ptr 1
		.amdhsa_user_sgpr_dispatch_id 0
		.amdhsa_user_sgpr_private_segment_size 0
		.amdhsa_wavefront_size32 1
		.amdhsa_uses_dynamic_stack 0
		.amdhsa_enable_private_segment 0
		.amdhsa_system_sgpr_workgroup_id_x 1
		.amdhsa_system_sgpr_workgroup_id_y 0
		.amdhsa_system_sgpr_workgroup_id_z 0
		.amdhsa_system_sgpr_workgroup_info 0
		.amdhsa_system_vgpr_workitem_id 0
		.amdhsa_next_free_vgpr 17
		.amdhsa_next_free_sgpr 18
		.amdhsa_reserve_vcc 1
		.amdhsa_float_round_mode_32 0
		.amdhsa_float_round_mode_16_64 0
		.amdhsa_float_denorm_mode_32 3
		.amdhsa_float_denorm_mode_16_64 3
		.amdhsa_dx10_clamp 1
		.amdhsa_ieee_mode 1
		.amdhsa_fp16_overflow 0
		.amdhsa_workgroup_processor_mode 1
		.amdhsa_memory_ordered 1
		.amdhsa_forward_progress 0
		.amdhsa_shared_vgpr_count 0
		.amdhsa_exception_fp_ieee_invalid_op 0
		.amdhsa_exception_fp_denorm_src 0
		.amdhsa_exception_fp_ieee_div_zero 0
		.amdhsa_exception_fp_ieee_overflow 0
		.amdhsa_exception_fp_ieee_underflow 0
		.amdhsa_exception_fp_ieee_inexact 0
		.amdhsa_exception_int_div_zero 0
	.end_amdhsa_kernel
	.section	.text._ZN9rocsparseL14nnz_kernel_colILi256Ell21rocsparse_complex_numIdEEEv16rocsparse_order_T1_S4_PKT2_lPT0_,"axG",@progbits,_ZN9rocsparseL14nnz_kernel_colILi256Ell21rocsparse_complex_numIdEEEv16rocsparse_order_T1_S4_PKT2_lPT0_,comdat
.Lfunc_end35:
	.size	_ZN9rocsparseL14nnz_kernel_colILi256Ell21rocsparse_complex_numIdEEEv16rocsparse_order_T1_S4_PKT2_lPT0_, .Lfunc_end35-_ZN9rocsparseL14nnz_kernel_colILi256Ell21rocsparse_complex_numIdEEEv16rocsparse_order_T1_S4_PKT2_lPT0_
                                        ; -- End function
	.section	.AMDGPU.csdata,"",@progbits
; Kernel info:
; codeLenInByte = 1988
; NumSgprs: 20
; NumVgprs: 17
; ScratchSize: 0
; MemoryBound: 0
; FloatMode: 240
; IeeeMode: 1
; LDSByteSize: 2048 bytes/workgroup (compile time only)
; SGPRBlocks: 2
; VGPRBlocks: 2
; NumSGPRsForWavesPerEU: 20
; NumVGPRsForWavesPerEU: 17
; Occupancy: 16
; WaveLimiterHint : 0
; COMPUTE_PGM_RSRC2:SCRATCH_EN: 0
; COMPUTE_PGM_RSRC2:USER_SGPR: 15
; COMPUTE_PGM_RSRC2:TRAP_HANDLER: 0
; COMPUTE_PGM_RSRC2:TGID_X_EN: 1
; COMPUTE_PGM_RSRC2:TGID_Y_EN: 0
; COMPUTE_PGM_RSRC2:TGID_Z_EN: 0
; COMPUTE_PGM_RSRC2:TIDIG_COMP_CNT: 0
	.text
	.p2alignl 7, 3214868480
	.fill 96, 4, 3214868480
	.type	__hip_cuid_5ed1b1a06e7e25fa,@object ; @__hip_cuid_5ed1b1a06e7e25fa
	.section	.bss,"aw",@nobits
	.globl	__hip_cuid_5ed1b1a06e7e25fa
__hip_cuid_5ed1b1a06e7e25fa:
	.byte	0                               ; 0x0
	.size	__hip_cuid_5ed1b1a06e7e25fa, 1

	.ident	"AMD clang version 19.0.0git (https://github.com/RadeonOpenCompute/llvm-project roc-6.4.0 25133 c7fe45cf4b819c5991fe208aaa96edf142730f1d)"
	.section	".note.GNU-stack","",@progbits
	.addrsig
	.addrsig_sym __hip_cuid_5ed1b1a06e7e25fa
	.amdgpu_metadata
---
amdhsa.kernels:
  - .args:
      - .offset:         0
        .size:           4
        .value_kind:     by_value
      - .offset:         4
        .size:           4
        .value_kind:     by_value
      - .offset:         8
        .size:           4
        .value_kind:     by_value
      - .actual_access:  read_only
        .address_space:  global
        .offset:         16
        .size:           8
        .value_kind:     global_buffer
      - .offset:         24
        .size:           8
        .value_kind:     by_value
      - .actual_access:  write_only
        .address_space:  global
        .offset:         32
        .size:           8
        .value_kind:     global_buffer
      - .offset:         40
        .size:           4
        .value_kind:     hidden_block_count_x
      - .offset:         44
        .size:           4
        .value_kind:     hidden_block_count_y
      - .offset:         48
        .size:           4
        .value_kind:     hidden_block_count_z
      - .offset:         52
        .size:           2
        .value_kind:     hidden_group_size_x
      - .offset:         54
        .size:           2
        .value_kind:     hidden_group_size_y
      - .offset:         56
        .size:           2
        .value_kind:     hidden_group_size_z
      - .offset:         58
        .size:           2
        .value_kind:     hidden_remainder_x
      - .offset:         60
        .size:           2
        .value_kind:     hidden_remainder_y
      - .offset:         62
        .size:           2
        .value_kind:     hidden_remainder_z
      - .offset:         80
        .size:           8
        .value_kind:     hidden_global_offset_x
      - .offset:         88
        .size:           8
        .value_kind:     hidden_global_offset_y
      - .offset:         96
        .size:           8
        .value_kind:     hidden_global_offset_z
      - .offset:         104
        .size:           2
        .value_kind:     hidden_grid_dims
    .group_segment_fixed_size: 16384
    .kernarg_segment_align: 8
    .kernarg_segment_size: 296
    .language:       OpenCL C
    .language_version:
      - 2
      - 0
    .max_flat_workgroup_size: 1024
    .name:           _ZN9rocsparseL14nnz_kernel_rowILi64ELi16EiiDF16_EEv16rocsparse_order_T2_S2_PKT3_lPT1_
    .private_segment_fixed_size: 0
    .sgpr_count:     26
    .sgpr_spill_count: 0
    .symbol:         _ZN9rocsparseL14nnz_kernel_rowILi64ELi16EiiDF16_EEv16rocsparse_order_T2_S2_PKT3_lPT1_.kd
    .uniform_work_group_size: 1
    .uses_dynamic_stack: false
    .vgpr_count:     33
    .vgpr_spill_count: 0
    .wavefront_size: 32
    .workgroup_processor_mode: 1
  - .args:
      - .offset:         0
        .size:           4
        .value_kind:     by_value
      - .offset:         4
        .size:           4
        .value_kind:     by_value
      - .offset:         8
        .size:           4
        .value_kind:     by_value
      - .actual_access:  read_only
        .address_space:  global
        .offset:         16
        .size:           8
        .value_kind:     global_buffer
      - .offset:         24
        .size:           8
        .value_kind:     by_value
      - .actual_access:  write_only
        .address_space:  global
        .offset:         32
        .size:           8
        .value_kind:     global_buffer
    .group_segment_fixed_size: 1024
    .kernarg_segment_align: 8
    .kernarg_segment_size: 40
    .language:       OpenCL C
    .language_version:
      - 2
      - 0
    .max_flat_workgroup_size: 256
    .name:           _ZN9rocsparseL14nnz_kernel_colILi256EiiDF16_EEv16rocsparse_order_T1_S2_PKT2_lPT0_
    .private_segment_fixed_size: 0
    .sgpr_count:     18
    .sgpr_spill_count: 0
    .symbol:         _ZN9rocsparseL14nnz_kernel_colILi256EiiDF16_EEv16rocsparse_order_T1_S2_PKT2_lPT0_.kd
    .uniform_work_group_size: 1
    .uses_dynamic_stack: false
    .vgpr_count:     11
    .vgpr_spill_count: 0
    .wavefront_size: 32
    .workgroup_processor_mode: 1
  - .args:
      - .offset:         0
        .size:           4
        .value_kind:     by_value
      - .offset:         4
        .size:           4
        .value_kind:     by_value
      - .offset:         8
        .size:           4
        .value_kind:     by_value
      - .actual_access:  read_only
        .address_space:  global
        .offset:         16
        .size:           8
        .value_kind:     global_buffer
      - .offset:         24
        .size:           8
        .value_kind:     by_value
      - .actual_access:  write_only
        .address_space:  global
        .offset:         32
        .size:           8
        .value_kind:     global_buffer
      - .offset:         40
        .size:           4
        .value_kind:     hidden_block_count_x
      - .offset:         44
        .size:           4
        .value_kind:     hidden_block_count_y
      - .offset:         48
        .size:           4
        .value_kind:     hidden_block_count_z
      - .offset:         52
        .size:           2
        .value_kind:     hidden_group_size_x
      - .offset:         54
        .size:           2
        .value_kind:     hidden_group_size_y
      - .offset:         56
        .size:           2
        .value_kind:     hidden_group_size_z
      - .offset:         58
        .size:           2
        .value_kind:     hidden_remainder_x
      - .offset:         60
        .size:           2
        .value_kind:     hidden_remainder_y
      - .offset:         62
        .size:           2
        .value_kind:     hidden_remainder_z
      - .offset:         80
        .size:           8
        .value_kind:     hidden_global_offset_x
      - .offset:         88
        .size:           8
        .value_kind:     hidden_global_offset_y
      - .offset:         96
        .size:           8
        .value_kind:     hidden_global_offset_z
      - .offset:         104
        .size:           2
        .value_kind:     hidden_grid_dims
    .group_segment_fixed_size: 16384
    .kernarg_segment_align: 8
    .kernarg_segment_size: 296
    .language:       OpenCL C
    .language_version:
      - 2
      - 0
    .max_flat_workgroup_size: 1024
    .name:           _ZN9rocsparseL14nnz_kernel_rowILi64ELi16Eii18rocsparse_bfloat16EEv16rocsparse_order_T2_S3_PKT3_lPT1_
    .private_segment_fixed_size: 0
    .sgpr_count:     26
    .sgpr_spill_count: 0
    .symbol:         _ZN9rocsparseL14nnz_kernel_rowILi64ELi16Eii18rocsparse_bfloat16EEv16rocsparse_order_T2_S3_PKT3_lPT1_.kd
    .uniform_work_group_size: 1
    .uses_dynamic_stack: false
    .vgpr_count:     33
    .vgpr_spill_count: 0
    .wavefront_size: 32
    .workgroup_processor_mode: 1
  - .args:
      - .offset:         0
        .size:           4
        .value_kind:     by_value
      - .offset:         4
        .size:           4
        .value_kind:     by_value
      - .offset:         8
        .size:           4
        .value_kind:     by_value
      - .actual_access:  read_only
        .address_space:  global
        .offset:         16
        .size:           8
        .value_kind:     global_buffer
      - .offset:         24
        .size:           8
        .value_kind:     by_value
      - .actual_access:  write_only
        .address_space:  global
        .offset:         32
        .size:           8
        .value_kind:     global_buffer
    .group_segment_fixed_size: 1024
    .kernarg_segment_align: 8
    .kernarg_segment_size: 40
    .language:       OpenCL C
    .language_version:
      - 2
      - 0
    .max_flat_workgroup_size: 256
    .name:           _ZN9rocsparseL14nnz_kernel_colILi256Eii18rocsparse_bfloat16EEv16rocsparse_order_T1_S3_PKT2_lPT0_
    .private_segment_fixed_size: 0
    .sgpr_count:     18
    .sgpr_spill_count: 0
    .symbol:         _ZN9rocsparseL14nnz_kernel_colILi256Eii18rocsparse_bfloat16EEv16rocsparse_order_T1_S3_PKT2_lPT0_.kd
    .uniform_work_group_size: 1
    .uses_dynamic_stack: false
    .vgpr_count:     11
    .vgpr_spill_count: 0
    .wavefront_size: 32
    .workgroup_processor_mode: 1
  - .args:
      - .offset:         0
        .size:           4
        .value_kind:     by_value
      - .offset:         4
        .size:           4
        .value_kind:     by_value
      - .offset:         8
        .size:           4
        .value_kind:     by_value
      - .actual_access:  read_only
        .address_space:  global
        .offset:         16
        .size:           8
        .value_kind:     global_buffer
      - .offset:         24
        .size:           8
        .value_kind:     by_value
      - .actual_access:  write_only
        .address_space:  global
        .offset:         32
        .size:           8
        .value_kind:     global_buffer
      - .offset:         40
        .size:           4
        .value_kind:     hidden_block_count_x
      - .offset:         44
        .size:           4
        .value_kind:     hidden_block_count_y
      - .offset:         48
        .size:           4
        .value_kind:     hidden_block_count_z
      - .offset:         52
        .size:           2
        .value_kind:     hidden_group_size_x
      - .offset:         54
        .size:           2
        .value_kind:     hidden_group_size_y
      - .offset:         56
        .size:           2
        .value_kind:     hidden_group_size_z
      - .offset:         58
        .size:           2
        .value_kind:     hidden_remainder_x
      - .offset:         60
        .size:           2
        .value_kind:     hidden_remainder_y
      - .offset:         62
        .size:           2
        .value_kind:     hidden_remainder_z
      - .offset:         80
        .size:           8
        .value_kind:     hidden_global_offset_x
      - .offset:         88
        .size:           8
        .value_kind:     hidden_global_offset_y
      - .offset:         96
        .size:           8
        .value_kind:     hidden_global_offset_z
      - .offset:         104
        .size:           2
        .value_kind:     hidden_grid_dims
    .group_segment_fixed_size: 16384
    .kernarg_segment_align: 8
    .kernarg_segment_size: 296
    .language:       OpenCL C
    .language_version:
      - 2
      - 0
    .max_flat_workgroup_size: 1024
    .name:           _ZN9rocsparseL14nnz_kernel_rowILi64ELi16EiifEEv16rocsparse_order_T2_S2_PKT3_lPT1_
    .private_segment_fixed_size: 0
    .sgpr_count:     26
    .sgpr_spill_count: 0
    .symbol:         _ZN9rocsparseL14nnz_kernel_rowILi64ELi16EiifEEv16rocsparse_order_T2_S2_PKT3_lPT1_.kd
    .uniform_work_group_size: 1
    .uses_dynamic_stack: false
    .vgpr_count:     33
    .vgpr_spill_count: 0
    .wavefront_size: 32
    .workgroup_processor_mode: 1
  - .args:
      - .offset:         0
        .size:           4
        .value_kind:     by_value
      - .offset:         4
        .size:           4
        .value_kind:     by_value
      - .offset:         8
        .size:           4
        .value_kind:     by_value
      - .actual_access:  read_only
        .address_space:  global
        .offset:         16
        .size:           8
        .value_kind:     global_buffer
      - .offset:         24
        .size:           8
        .value_kind:     by_value
      - .actual_access:  write_only
        .address_space:  global
        .offset:         32
        .size:           8
        .value_kind:     global_buffer
    .group_segment_fixed_size: 1024
    .kernarg_segment_align: 8
    .kernarg_segment_size: 40
    .language:       OpenCL C
    .language_version:
      - 2
      - 0
    .max_flat_workgroup_size: 256
    .name:           _ZN9rocsparseL14nnz_kernel_colILi256EiifEEv16rocsparse_order_T1_S2_PKT2_lPT0_
    .private_segment_fixed_size: 0
    .sgpr_count:     18
    .sgpr_spill_count: 0
    .symbol:         _ZN9rocsparseL14nnz_kernel_colILi256EiifEEv16rocsparse_order_T1_S2_PKT2_lPT0_.kd
    .uniform_work_group_size: 1
    .uses_dynamic_stack: false
    .vgpr_count:     11
    .vgpr_spill_count: 0
    .wavefront_size: 32
    .workgroup_processor_mode: 1
  - .args:
      - .offset:         0
        .size:           4
        .value_kind:     by_value
      - .offset:         4
        .size:           4
        .value_kind:     by_value
      - .offset:         8
        .size:           4
        .value_kind:     by_value
      - .actual_access:  read_only
        .address_space:  global
        .offset:         16
        .size:           8
        .value_kind:     global_buffer
      - .offset:         24
        .size:           8
        .value_kind:     by_value
      - .actual_access:  write_only
        .address_space:  global
        .offset:         32
        .size:           8
        .value_kind:     global_buffer
      - .offset:         40
        .size:           4
        .value_kind:     hidden_block_count_x
      - .offset:         44
        .size:           4
        .value_kind:     hidden_block_count_y
      - .offset:         48
        .size:           4
        .value_kind:     hidden_block_count_z
      - .offset:         52
        .size:           2
        .value_kind:     hidden_group_size_x
      - .offset:         54
        .size:           2
        .value_kind:     hidden_group_size_y
      - .offset:         56
        .size:           2
        .value_kind:     hidden_group_size_z
      - .offset:         58
        .size:           2
        .value_kind:     hidden_remainder_x
      - .offset:         60
        .size:           2
        .value_kind:     hidden_remainder_y
      - .offset:         62
        .size:           2
        .value_kind:     hidden_remainder_z
      - .offset:         80
        .size:           8
        .value_kind:     hidden_global_offset_x
      - .offset:         88
        .size:           8
        .value_kind:     hidden_global_offset_y
      - .offset:         96
        .size:           8
        .value_kind:     hidden_global_offset_z
      - .offset:         104
        .size:           2
        .value_kind:     hidden_grid_dims
    .group_segment_fixed_size: 16384
    .kernarg_segment_align: 8
    .kernarg_segment_size: 296
    .language:       OpenCL C
    .language_version:
      - 2
      - 0
    .max_flat_workgroup_size: 1024
    .name:           _ZN9rocsparseL14nnz_kernel_rowILi64ELi16EiidEEv16rocsparse_order_T2_S2_PKT3_lPT1_
    .private_segment_fixed_size: 0
    .sgpr_count:     26
    .sgpr_spill_count: 0
    .symbol:         _ZN9rocsparseL14nnz_kernel_rowILi64ELi16EiidEEv16rocsparse_order_T2_S2_PKT3_lPT1_.kd
    .uniform_work_group_size: 1
    .uses_dynamic_stack: false
    .vgpr_count:     36
    .vgpr_spill_count: 0
    .wavefront_size: 32
    .workgroup_processor_mode: 1
  - .args:
      - .offset:         0
        .size:           4
        .value_kind:     by_value
      - .offset:         4
        .size:           4
        .value_kind:     by_value
      - .offset:         8
        .size:           4
        .value_kind:     by_value
      - .actual_access:  read_only
        .address_space:  global
        .offset:         16
        .size:           8
        .value_kind:     global_buffer
      - .offset:         24
        .size:           8
        .value_kind:     by_value
      - .actual_access:  write_only
        .address_space:  global
        .offset:         32
        .size:           8
        .value_kind:     global_buffer
    .group_segment_fixed_size: 1024
    .kernarg_segment_align: 8
    .kernarg_segment_size: 40
    .language:       OpenCL C
    .language_version:
      - 2
      - 0
    .max_flat_workgroup_size: 256
    .name:           _ZN9rocsparseL14nnz_kernel_colILi256EiidEEv16rocsparse_order_T1_S2_PKT2_lPT0_
    .private_segment_fixed_size: 0
    .sgpr_count:     18
    .sgpr_spill_count: 0
    .symbol:         _ZN9rocsparseL14nnz_kernel_colILi256EiidEEv16rocsparse_order_T1_S2_PKT2_lPT0_.kd
    .uniform_work_group_size: 1
    .uses_dynamic_stack: false
    .vgpr_count:     11
    .vgpr_spill_count: 0
    .wavefront_size: 32
    .workgroup_processor_mode: 1
  - .args:
      - .offset:         0
        .size:           4
        .value_kind:     by_value
      - .offset:         4
        .size:           4
        .value_kind:     by_value
      - .offset:         8
        .size:           4
        .value_kind:     by_value
      - .actual_access:  read_only
        .address_space:  global
        .offset:         16
        .size:           8
        .value_kind:     global_buffer
      - .offset:         24
        .size:           8
        .value_kind:     by_value
      - .actual_access:  write_only
        .address_space:  global
        .offset:         32
        .size:           8
        .value_kind:     global_buffer
      - .offset:         40
        .size:           4
        .value_kind:     hidden_block_count_x
      - .offset:         44
        .size:           4
        .value_kind:     hidden_block_count_y
      - .offset:         48
        .size:           4
        .value_kind:     hidden_block_count_z
      - .offset:         52
        .size:           2
        .value_kind:     hidden_group_size_x
      - .offset:         54
        .size:           2
        .value_kind:     hidden_group_size_y
      - .offset:         56
        .size:           2
        .value_kind:     hidden_group_size_z
      - .offset:         58
        .size:           2
        .value_kind:     hidden_remainder_x
      - .offset:         60
        .size:           2
        .value_kind:     hidden_remainder_y
      - .offset:         62
        .size:           2
        .value_kind:     hidden_remainder_z
      - .offset:         80
        .size:           8
        .value_kind:     hidden_global_offset_x
      - .offset:         88
        .size:           8
        .value_kind:     hidden_global_offset_y
      - .offset:         96
        .size:           8
        .value_kind:     hidden_global_offset_z
      - .offset:         104
        .size:           2
        .value_kind:     hidden_grid_dims
    .group_segment_fixed_size: 16384
    .kernarg_segment_align: 8
    .kernarg_segment_size: 296
    .language:       OpenCL C
    .language_version:
      - 2
      - 0
    .max_flat_workgroup_size: 1024
    .name:           _ZN9rocsparseL14nnz_kernel_rowILi64ELi16Eii21rocsparse_complex_numIfEEEv16rocsparse_order_T2_S4_PKT3_lPT1_
    .private_segment_fixed_size: 0
    .sgpr_count:     26
    .sgpr_spill_count: 0
    .symbol:         _ZN9rocsparseL14nnz_kernel_rowILi64ELi16Eii21rocsparse_complex_numIfEEEv16rocsparse_order_T2_S4_PKT3_lPT1_.kd
    .uniform_work_group_size: 1
    .uses_dynamic_stack: false
    .vgpr_count:     36
    .vgpr_spill_count: 0
    .wavefront_size: 32
    .workgroup_processor_mode: 1
  - .args:
      - .offset:         0
        .size:           4
        .value_kind:     by_value
      - .offset:         4
        .size:           4
        .value_kind:     by_value
      - .offset:         8
        .size:           4
        .value_kind:     by_value
      - .actual_access:  read_only
        .address_space:  global
        .offset:         16
        .size:           8
        .value_kind:     global_buffer
      - .offset:         24
        .size:           8
        .value_kind:     by_value
      - .actual_access:  write_only
        .address_space:  global
        .offset:         32
        .size:           8
        .value_kind:     global_buffer
    .group_segment_fixed_size: 1024
    .kernarg_segment_align: 8
    .kernarg_segment_size: 40
    .language:       OpenCL C
    .language_version:
      - 2
      - 0
    .max_flat_workgroup_size: 256
    .name:           _ZN9rocsparseL14nnz_kernel_colILi256Eii21rocsparse_complex_numIfEEEv16rocsparse_order_T1_S4_PKT2_lPT0_
    .private_segment_fixed_size: 0
    .sgpr_count:     18
    .sgpr_spill_count: 0
    .symbol:         _ZN9rocsparseL14nnz_kernel_colILi256Eii21rocsparse_complex_numIfEEEv16rocsparse_order_T1_S4_PKT2_lPT0_.kd
    .uniform_work_group_size: 1
    .uses_dynamic_stack: false
    .vgpr_count:     11
    .vgpr_spill_count: 0
    .wavefront_size: 32
    .workgroup_processor_mode: 1
  - .args:
      - .offset:         0
        .size:           4
        .value_kind:     by_value
      - .offset:         4
        .size:           4
        .value_kind:     by_value
      - .offset:         8
        .size:           4
        .value_kind:     by_value
      - .actual_access:  read_only
        .address_space:  global
        .offset:         16
        .size:           8
        .value_kind:     global_buffer
      - .offset:         24
        .size:           8
        .value_kind:     by_value
      - .actual_access:  write_only
        .address_space:  global
        .offset:         32
        .size:           8
        .value_kind:     global_buffer
      - .offset:         40
        .size:           4
        .value_kind:     hidden_block_count_x
      - .offset:         44
        .size:           4
        .value_kind:     hidden_block_count_y
      - .offset:         48
        .size:           4
        .value_kind:     hidden_block_count_z
      - .offset:         52
        .size:           2
        .value_kind:     hidden_group_size_x
      - .offset:         54
        .size:           2
        .value_kind:     hidden_group_size_y
      - .offset:         56
        .size:           2
        .value_kind:     hidden_group_size_z
      - .offset:         58
        .size:           2
        .value_kind:     hidden_remainder_x
      - .offset:         60
        .size:           2
        .value_kind:     hidden_remainder_y
      - .offset:         62
        .size:           2
        .value_kind:     hidden_remainder_z
      - .offset:         80
        .size:           8
        .value_kind:     hidden_global_offset_x
      - .offset:         88
        .size:           8
        .value_kind:     hidden_global_offset_y
      - .offset:         96
        .size:           8
        .value_kind:     hidden_global_offset_z
      - .offset:         104
        .size:           2
        .value_kind:     hidden_grid_dims
    .group_segment_fixed_size: 16384
    .kernarg_segment_align: 8
    .kernarg_segment_size: 296
    .language:       OpenCL C
    .language_version:
      - 2
      - 0
    .max_flat_workgroup_size: 1024
    .name:           _ZN9rocsparseL14nnz_kernel_rowILi64ELi16Eii21rocsparse_complex_numIdEEEv16rocsparse_order_T2_S4_PKT3_lPT1_
    .private_segment_fixed_size: 0
    .sgpr_count:     30
    .sgpr_spill_count: 0
    .symbol:         _ZN9rocsparseL14nnz_kernel_rowILi64ELi16Eii21rocsparse_complex_numIdEEEv16rocsparse_order_T2_S4_PKT3_lPT1_.kd
    .uniform_work_group_size: 1
    .uses_dynamic_stack: false
    .vgpr_count:     44
    .vgpr_spill_count: 0
    .wavefront_size: 32
    .workgroup_processor_mode: 1
  - .args:
      - .offset:         0
        .size:           4
        .value_kind:     by_value
      - .offset:         4
        .size:           4
        .value_kind:     by_value
      - .offset:         8
        .size:           4
        .value_kind:     by_value
      - .actual_access:  read_only
        .address_space:  global
        .offset:         16
        .size:           8
        .value_kind:     global_buffer
      - .offset:         24
        .size:           8
        .value_kind:     by_value
      - .actual_access:  write_only
        .address_space:  global
        .offset:         32
        .size:           8
        .value_kind:     global_buffer
    .group_segment_fixed_size: 1024
    .kernarg_segment_align: 8
    .kernarg_segment_size: 40
    .language:       OpenCL C
    .language_version:
      - 2
      - 0
    .max_flat_workgroup_size: 256
    .name:           _ZN9rocsparseL14nnz_kernel_colILi256Eii21rocsparse_complex_numIdEEEv16rocsparse_order_T1_S4_PKT2_lPT0_
    .private_segment_fixed_size: 0
    .sgpr_count:     18
    .sgpr_spill_count: 0
    .symbol:         _ZN9rocsparseL14nnz_kernel_colILi256Eii21rocsparse_complex_numIdEEEv16rocsparse_order_T1_S4_PKT2_lPT0_.kd
    .uniform_work_group_size: 1
    .uses_dynamic_stack: false
    .vgpr_count:     11
    .vgpr_spill_count: 0
    .wavefront_size: 32
    .workgroup_processor_mode: 1
  - .args:
      - .offset:         0
        .size:           4
        .value_kind:     by_value
      - .offset:         4
        .size:           4
        .value_kind:     by_value
      - .offset:         8
        .size:           4
        .value_kind:     by_value
      - .actual_access:  read_only
        .address_space:  global
        .offset:         16
        .size:           8
        .value_kind:     global_buffer
      - .offset:         24
        .size:           8
        .value_kind:     by_value
      - .actual_access:  write_only
        .address_space:  global
        .offset:         32
        .size:           8
        .value_kind:     global_buffer
      - .offset:         40
        .size:           4
        .value_kind:     hidden_block_count_x
      - .offset:         44
        .size:           4
        .value_kind:     hidden_block_count_y
      - .offset:         48
        .size:           4
        .value_kind:     hidden_block_count_z
      - .offset:         52
        .size:           2
        .value_kind:     hidden_group_size_x
      - .offset:         54
        .size:           2
        .value_kind:     hidden_group_size_y
      - .offset:         56
        .size:           2
        .value_kind:     hidden_group_size_z
      - .offset:         58
        .size:           2
        .value_kind:     hidden_remainder_x
      - .offset:         60
        .size:           2
        .value_kind:     hidden_remainder_y
      - .offset:         62
        .size:           2
        .value_kind:     hidden_remainder_z
      - .offset:         80
        .size:           8
        .value_kind:     hidden_global_offset_x
      - .offset:         88
        .size:           8
        .value_kind:     hidden_global_offset_y
      - .offset:         96
        .size:           8
        .value_kind:     hidden_global_offset_z
      - .offset:         104
        .size:           2
        .value_kind:     hidden_grid_dims
    .group_segment_fixed_size: 32768
    .kernarg_segment_align: 8
    .kernarg_segment_size: 296
    .language:       OpenCL C
    .language_version:
      - 2
      - 0
    .max_flat_workgroup_size: 1024
    .name:           _ZN9rocsparseL14nnz_kernel_rowILi64ELi16Eli18rocsparse_bfloat16EEv16rocsparse_order_T2_S3_PKT3_lPT1_
    .private_segment_fixed_size: 0
    .sgpr_count:     27
    .sgpr_spill_count: 0
    .symbol:         _ZN9rocsparseL14nnz_kernel_rowILi64ELi16Eli18rocsparse_bfloat16EEv16rocsparse_order_T2_S3_PKT3_lPT1_.kd
    .uniform_work_group_size: 1
    .uses_dynamic_stack: false
    .vgpr_count:     41
    .vgpr_spill_count: 0
    .wavefront_size: 32
    .workgroup_processor_mode: 1
  - .args:
      - .offset:         0
        .size:           4
        .value_kind:     by_value
      - .offset:         4
        .size:           4
        .value_kind:     by_value
      - .offset:         8
        .size:           4
        .value_kind:     by_value
      - .actual_access:  read_only
        .address_space:  global
        .offset:         16
        .size:           8
        .value_kind:     global_buffer
      - .offset:         24
        .size:           8
        .value_kind:     by_value
      - .actual_access:  write_only
        .address_space:  global
        .offset:         32
        .size:           8
        .value_kind:     global_buffer
    .group_segment_fixed_size: 2048
    .kernarg_segment_align: 8
    .kernarg_segment_size: 40
    .language:       OpenCL C
    .language_version:
      - 2
      - 0
    .max_flat_workgroup_size: 256
    .name:           _ZN9rocsparseL14nnz_kernel_colILi256Eli18rocsparse_bfloat16EEv16rocsparse_order_T1_S3_PKT2_lPT0_
    .private_segment_fixed_size: 0
    .sgpr_count:     18
    .sgpr_spill_count: 0
    .symbol:         _ZN9rocsparseL14nnz_kernel_colILi256Eli18rocsparse_bfloat16EEv16rocsparse_order_T1_S3_PKT2_lPT0_.kd
    .uniform_work_group_size: 1
    .uses_dynamic_stack: false
    .vgpr_count:     17
    .vgpr_spill_count: 0
    .wavefront_size: 32
    .workgroup_processor_mode: 1
  - .args:
      - .offset:         0
        .size:           4
        .value_kind:     by_value
      - .offset:         4
        .size:           4
        .value_kind:     by_value
      - .offset:         8
        .size:           4
        .value_kind:     by_value
      - .actual_access:  read_only
        .address_space:  global
        .offset:         16
        .size:           8
        .value_kind:     global_buffer
      - .offset:         24
        .size:           8
        .value_kind:     by_value
      - .actual_access:  write_only
        .address_space:  global
        .offset:         32
        .size:           8
        .value_kind:     global_buffer
      - .offset:         40
        .size:           4
        .value_kind:     hidden_block_count_x
      - .offset:         44
        .size:           4
        .value_kind:     hidden_block_count_y
      - .offset:         48
        .size:           4
        .value_kind:     hidden_block_count_z
      - .offset:         52
        .size:           2
        .value_kind:     hidden_group_size_x
      - .offset:         54
        .size:           2
        .value_kind:     hidden_group_size_y
      - .offset:         56
        .size:           2
        .value_kind:     hidden_group_size_z
      - .offset:         58
        .size:           2
        .value_kind:     hidden_remainder_x
      - .offset:         60
        .size:           2
        .value_kind:     hidden_remainder_y
      - .offset:         62
        .size:           2
        .value_kind:     hidden_remainder_z
      - .offset:         80
        .size:           8
        .value_kind:     hidden_global_offset_x
      - .offset:         88
        .size:           8
        .value_kind:     hidden_global_offset_y
      - .offset:         96
        .size:           8
        .value_kind:     hidden_global_offset_z
      - .offset:         104
        .size:           2
        .value_kind:     hidden_grid_dims
    .group_segment_fixed_size: 32768
    .kernarg_segment_align: 8
    .kernarg_segment_size: 296
    .language:       OpenCL C
    .language_version:
      - 2
      - 0
    .max_flat_workgroup_size: 1024
    .name:           _ZN9rocsparseL14nnz_kernel_rowILi64ELi16EliDF16_EEv16rocsparse_order_T2_S2_PKT3_lPT1_
    .private_segment_fixed_size: 0
    .sgpr_count:     27
    .sgpr_spill_count: 0
    .symbol:         _ZN9rocsparseL14nnz_kernel_rowILi64ELi16EliDF16_EEv16rocsparse_order_T2_S2_PKT3_lPT1_.kd
    .uniform_work_group_size: 1
    .uses_dynamic_stack: false
    .vgpr_count:     41
    .vgpr_spill_count: 0
    .wavefront_size: 32
    .workgroup_processor_mode: 1
  - .args:
      - .offset:         0
        .size:           4
        .value_kind:     by_value
      - .offset:         4
        .size:           4
        .value_kind:     by_value
      - .offset:         8
        .size:           4
        .value_kind:     by_value
      - .actual_access:  read_only
        .address_space:  global
        .offset:         16
        .size:           8
        .value_kind:     global_buffer
      - .offset:         24
        .size:           8
        .value_kind:     by_value
      - .actual_access:  write_only
        .address_space:  global
        .offset:         32
        .size:           8
        .value_kind:     global_buffer
    .group_segment_fixed_size: 2048
    .kernarg_segment_align: 8
    .kernarg_segment_size: 40
    .language:       OpenCL C
    .language_version:
      - 2
      - 0
    .max_flat_workgroup_size: 256
    .name:           _ZN9rocsparseL14nnz_kernel_colILi256EliDF16_EEv16rocsparse_order_T1_S2_PKT2_lPT0_
    .private_segment_fixed_size: 0
    .sgpr_count:     18
    .sgpr_spill_count: 0
    .symbol:         _ZN9rocsparseL14nnz_kernel_colILi256EliDF16_EEv16rocsparse_order_T1_S2_PKT2_lPT0_.kd
    .uniform_work_group_size: 1
    .uses_dynamic_stack: false
    .vgpr_count:     17
    .vgpr_spill_count: 0
    .wavefront_size: 32
    .workgroup_processor_mode: 1
  - .args:
      - .offset:         0
        .size:           4
        .value_kind:     by_value
      - .offset:         4
        .size:           4
        .value_kind:     by_value
      - .offset:         8
        .size:           4
        .value_kind:     by_value
      - .actual_access:  read_only
        .address_space:  global
        .offset:         16
        .size:           8
        .value_kind:     global_buffer
      - .offset:         24
        .size:           8
        .value_kind:     by_value
      - .actual_access:  write_only
        .address_space:  global
        .offset:         32
        .size:           8
        .value_kind:     global_buffer
      - .offset:         40
        .size:           4
        .value_kind:     hidden_block_count_x
      - .offset:         44
        .size:           4
        .value_kind:     hidden_block_count_y
      - .offset:         48
        .size:           4
        .value_kind:     hidden_block_count_z
      - .offset:         52
        .size:           2
        .value_kind:     hidden_group_size_x
      - .offset:         54
        .size:           2
        .value_kind:     hidden_group_size_y
      - .offset:         56
        .size:           2
        .value_kind:     hidden_group_size_z
      - .offset:         58
        .size:           2
        .value_kind:     hidden_remainder_x
      - .offset:         60
        .size:           2
        .value_kind:     hidden_remainder_y
      - .offset:         62
        .size:           2
        .value_kind:     hidden_remainder_z
      - .offset:         80
        .size:           8
        .value_kind:     hidden_global_offset_x
      - .offset:         88
        .size:           8
        .value_kind:     hidden_global_offset_y
      - .offset:         96
        .size:           8
        .value_kind:     hidden_global_offset_z
      - .offset:         104
        .size:           2
        .value_kind:     hidden_grid_dims
    .group_segment_fixed_size: 32768
    .kernarg_segment_align: 8
    .kernarg_segment_size: 296
    .language:       OpenCL C
    .language_version:
      - 2
      - 0
    .max_flat_workgroup_size: 1024
    .name:           _ZN9rocsparseL14nnz_kernel_rowILi64ELi16ElifEEv16rocsparse_order_T2_S2_PKT3_lPT1_
    .private_segment_fixed_size: 0
    .sgpr_count:     27
    .sgpr_spill_count: 0
    .symbol:         _ZN9rocsparseL14nnz_kernel_rowILi64ELi16ElifEEv16rocsparse_order_T2_S2_PKT3_lPT1_.kd
    .uniform_work_group_size: 1
    .uses_dynamic_stack: false
    .vgpr_count:     41
    .vgpr_spill_count: 0
    .wavefront_size: 32
    .workgroup_processor_mode: 1
  - .args:
      - .offset:         0
        .size:           4
        .value_kind:     by_value
      - .offset:         4
        .size:           4
        .value_kind:     by_value
      - .offset:         8
        .size:           4
        .value_kind:     by_value
      - .actual_access:  read_only
        .address_space:  global
        .offset:         16
        .size:           8
        .value_kind:     global_buffer
      - .offset:         24
        .size:           8
        .value_kind:     by_value
      - .actual_access:  write_only
        .address_space:  global
        .offset:         32
        .size:           8
        .value_kind:     global_buffer
    .group_segment_fixed_size: 2048
    .kernarg_segment_align: 8
    .kernarg_segment_size: 40
    .language:       OpenCL C
    .language_version:
      - 2
      - 0
    .max_flat_workgroup_size: 256
    .name:           _ZN9rocsparseL14nnz_kernel_colILi256ElifEEv16rocsparse_order_T1_S2_PKT2_lPT0_
    .private_segment_fixed_size: 0
    .sgpr_count:     18
    .sgpr_spill_count: 0
    .symbol:         _ZN9rocsparseL14nnz_kernel_colILi256ElifEEv16rocsparse_order_T1_S2_PKT2_lPT0_.kd
    .uniform_work_group_size: 1
    .uses_dynamic_stack: false
    .vgpr_count:     17
    .vgpr_spill_count: 0
    .wavefront_size: 32
    .workgroup_processor_mode: 1
  - .args:
      - .offset:         0
        .size:           4
        .value_kind:     by_value
      - .offset:         4
        .size:           4
        .value_kind:     by_value
      - .offset:         8
        .size:           4
        .value_kind:     by_value
      - .actual_access:  read_only
        .address_space:  global
        .offset:         16
        .size:           8
        .value_kind:     global_buffer
      - .offset:         24
        .size:           8
        .value_kind:     by_value
      - .actual_access:  write_only
        .address_space:  global
        .offset:         32
        .size:           8
        .value_kind:     global_buffer
      - .offset:         40
        .size:           4
        .value_kind:     hidden_block_count_x
      - .offset:         44
        .size:           4
        .value_kind:     hidden_block_count_y
      - .offset:         48
        .size:           4
        .value_kind:     hidden_block_count_z
      - .offset:         52
        .size:           2
        .value_kind:     hidden_group_size_x
      - .offset:         54
        .size:           2
        .value_kind:     hidden_group_size_y
      - .offset:         56
        .size:           2
        .value_kind:     hidden_group_size_z
      - .offset:         58
        .size:           2
        .value_kind:     hidden_remainder_x
      - .offset:         60
        .size:           2
        .value_kind:     hidden_remainder_y
      - .offset:         62
        .size:           2
        .value_kind:     hidden_remainder_z
      - .offset:         80
        .size:           8
        .value_kind:     hidden_global_offset_x
      - .offset:         88
        .size:           8
        .value_kind:     hidden_global_offset_y
      - .offset:         96
        .size:           8
        .value_kind:     hidden_global_offset_z
      - .offset:         104
        .size:           2
        .value_kind:     hidden_grid_dims
    .group_segment_fixed_size: 32768
    .kernarg_segment_align: 8
    .kernarg_segment_size: 296
    .language:       OpenCL C
    .language_version:
      - 2
      - 0
    .max_flat_workgroup_size: 1024
    .name:           _ZN9rocsparseL14nnz_kernel_rowILi64ELi16ElidEEv16rocsparse_order_T2_S2_PKT3_lPT1_
    .private_segment_fixed_size: 0
    .sgpr_count:     27
    .sgpr_spill_count: 0
    .symbol:         _ZN9rocsparseL14nnz_kernel_rowILi64ELi16ElidEEv16rocsparse_order_T2_S2_PKT3_lPT1_.kd
    .uniform_work_group_size: 1
    .uses_dynamic_stack: false
    .vgpr_count:     42
    .vgpr_spill_count: 0
    .wavefront_size: 32
    .workgroup_processor_mode: 1
  - .args:
      - .offset:         0
        .size:           4
        .value_kind:     by_value
      - .offset:         4
        .size:           4
        .value_kind:     by_value
      - .offset:         8
        .size:           4
        .value_kind:     by_value
      - .actual_access:  read_only
        .address_space:  global
        .offset:         16
        .size:           8
        .value_kind:     global_buffer
      - .offset:         24
        .size:           8
        .value_kind:     by_value
      - .actual_access:  write_only
        .address_space:  global
        .offset:         32
        .size:           8
        .value_kind:     global_buffer
    .group_segment_fixed_size: 2048
    .kernarg_segment_align: 8
    .kernarg_segment_size: 40
    .language:       OpenCL C
    .language_version:
      - 2
      - 0
    .max_flat_workgroup_size: 256
    .name:           _ZN9rocsparseL14nnz_kernel_colILi256ElidEEv16rocsparse_order_T1_S2_PKT2_lPT0_
    .private_segment_fixed_size: 0
    .sgpr_count:     18
    .sgpr_spill_count: 0
    .symbol:         _ZN9rocsparseL14nnz_kernel_colILi256ElidEEv16rocsparse_order_T1_S2_PKT2_lPT0_.kd
    .uniform_work_group_size: 1
    .uses_dynamic_stack: false
    .vgpr_count:     17
    .vgpr_spill_count: 0
    .wavefront_size: 32
    .workgroup_processor_mode: 1
  - .args:
      - .offset:         0
        .size:           4
        .value_kind:     by_value
      - .offset:         4
        .size:           4
        .value_kind:     by_value
      - .offset:         8
        .size:           4
        .value_kind:     by_value
      - .actual_access:  read_only
        .address_space:  global
        .offset:         16
        .size:           8
        .value_kind:     global_buffer
      - .offset:         24
        .size:           8
        .value_kind:     by_value
      - .actual_access:  write_only
        .address_space:  global
        .offset:         32
        .size:           8
        .value_kind:     global_buffer
      - .offset:         40
        .size:           4
        .value_kind:     hidden_block_count_x
      - .offset:         44
        .size:           4
        .value_kind:     hidden_block_count_y
      - .offset:         48
        .size:           4
        .value_kind:     hidden_block_count_z
      - .offset:         52
        .size:           2
        .value_kind:     hidden_group_size_x
      - .offset:         54
        .size:           2
        .value_kind:     hidden_group_size_y
      - .offset:         56
        .size:           2
        .value_kind:     hidden_group_size_z
      - .offset:         58
        .size:           2
        .value_kind:     hidden_remainder_x
      - .offset:         60
        .size:           2
        .value_kind:     hidden_remainder_y
      - .offset:         62
        .size:           2
        .value_kind:     hidden_remainder_z
      - .offset:         80
        .size:           8
        .value_kind:     hidden_global_offset_x
      - .offset:         88
        .size:           8
        .value_kind:     hidden_global_offset_y
      - .offset:         96
        .size:           8
        .value_kind:     hidden_global_offset_z
      - .offset:         104
        .size:           2
        .value_kind:     hidden_grid_dims
    .group_segment_fixed_size: 32768
    .kernarg_segment_align: 8
    .kernarg_segment_size: 296
    .language:       OpenCL C
    .language_version:
      - 2
      - 0
    .max_flat_workgroup_size: 1024
    .name:           _ZN9rocsparseL14nnz_kernel_rowILi64ELi16Eli21rocsparse_complex_numIfEEEv16rocsparse_order_T2_S4_PKT3_lPT1_
    .private_segment_fixed_size: 0
    .sgpr_count:     28
    .sgpr_spill_count: 0
    .symbol:         _ZN9rocsparseL14nnz_kernel_rowILi64ELi16Eli21rocsparse_complex_numIfEEEv16rocsparse_order_T2_S4_PKT3_lPT1_.kd
    .uniform_work_group_size: 1
    .uses_dynamic_stack: false
    .vgpr_count:     40
    .vgpr_spill_count: 0
    .wavefront_size: 32
    .workgroup_processor_mode: 1
  - .args:
      - .offset:         0
        .size:           4
        .value_kind:     by_value
      - .offset:         4
        .size:           4
        .value_kind:     by_value
      - .offset:         8
        .size:           4
        .value_kind:     by_value
      - .actual_access:  read_only
        .address_space:  global
        .offset:         16
        .size:           8
        .value_kind:     global_buffer
      - .offset:         24
        .size:           8
        .value_kind:     by_value
      - .actual_access:  write_only
        .address_space:  global
        .offset:         32
        .size:           8
        .value_kind:     global_buffer
    .group_segment_fixed_size: 2048
    .kernarg_segment_align: 8
    .kernarg_segment_size: 40
    .language:       OpenCL C
    .language_version:
      - 2
      - 0
    .max_flat_workgroup_size: 256
    .name:           _ZN9rocsparseL14nnz_kernel_colILi256Eli21rocsparse_complex_numIfEEEv16rocsparse_order_T1_S4_PKT2_lPT0_
    .private_segment_fixed_size: 0
    .sgpr_count:     18
    .sgpr_spill_count: 0
    .symbol:         _ZN9rocsparseL14nnz_kernel_colILi256Eli21rocsparse_complex_numIfEEEv16rocsparse_order_T1_S4_PKT2_lPT0_.kd
    .uniform_work_group_size: 1
    .uses_dynamic_stack: false
    .vgpr_count:     17
    .vgpr_spill_count: 0
    .wavefront_size: 32
    .workgroup_processor_mode: 1
  - .args:
      - .offset:         0
        .size:           4
        .value_kind:     by_value
      - .offset:         4
        .size:           4
        .value_kind:     by_value
      - .offset:         8
        .size:           4
        .value_kind:     by_value
      - .actual_access:  read_only
        .address_space:  global
        .offset:         16
        .size:           8
        .value_kind:     global_buffer
      - .offset:         24
        .size:           8
        .value_kind:     by_value
      - .actual_access:  write_only
        .address_space:  global
        .offset:         32
        .size:           8
        .value_kind:     global_buffer
      - .offset:         40
        .size:           4
        .value_kind:     hidden_block_count_x
      - .offset:         44
        .size:           4
        .value_kind:     hidden_block_count_y
      - .offset:         48
        .size:           4
        .value_kind:     hidden_block_count_z
      - .offset:         52
        .size:           2
        .value_kind:     hidden_group_size_x
      - .offset:         54
        .size:           2
        .value_kind:     hidden_group_size_y
      - .offset:         56
        .size:           2
        .value_kind:     hidden_group_size_z
      - .offset:         58
        .size:           2
        .value_kind:     hidden_remainder_x
      - .offset:         60
        .size:           2
        .value_kind:     hidden_remainder_y
      - .offset:         62
        .size:           2
        .value_kind:     hidden_remainder_z
      - .offset:         80
        .size:           8
        .value_kind:     hidden_global_offset_x
      - .offset:         88
        .size:           8
        .value_kind:     hidden_global_offset_y
      - .offset:         96
        .size:           8
        .value_kind:     hidden_global_offset_z
      - .offset:         104
        .size:           2
        .value_kind:     hidden_grid_dims
    .group_segment_fixed_size: 32768
    .kernarg_segment_align: 8
    .kernarg_segment_size: 296
    .language:       OpenCL C
    .language_version:
      - 2
      - 0
    .max_flat_workgroup_size: 1024
    .name:           _ZN9rocsparseL14nnz_kernel_rowILi64ELi16Eli21rocsparse_complex_numIdEEEv16rocsparse_order_T2_S4_PKT3_lPT1_
    .private_segment_fixed_size: 0
    .sgpr_count:     36
    .sgpr_spill_count: 0
    .symbol:         _ZN9rocsparseL14nnz_kernel_rowILi64ELi16Eli21rocsparse_complex_numIdEEEv16rocsparse_order_T2_S4_PKT3_lPT1_.kd
    .uniform_work_group_size: 1
    .uses_dynamic_stack: false
    .vgpr_count:     47
    .vgpr_spill_count: 0
    .wavefront_size: 32
    .workgroup_processor_mode: 1
  - .args:
      - .offset:         0
        .size:           4
        .value_kind:     by_value
      - .offset:         4
        .size:           4
        .value_kind:     by_value
      - .offset:         8
        .size:           4
        .value_kind:     by_value
      - .actual_access:  read_only
        .address_space:  global
        .offset:         16
        .size:           8
        .value_kind:     global_buffer
      - .offset:         24
        .size:           8
        .value_kind:     by_value
      - .actual_access:  write_only
        .address_space:  global
        .offset:         32
        .size:           8
        .value_kind:     global_buffer
    .group_segment_fixed_size: 2048
    .kernarg_segment_align: 8
    .kernarg_segment_size: 40
    .language:       OpenCL C
    .language_version:
      - 2
      - 0
    .max_flat_workgroup_size: 256
    .name:           _ZN9rocsparseL14nnz_kernel_colILi256Eli21rocsparse_complex_numIdEEEv16rocsparse_order_T1_S4_PKT2_lPT0_
    .private_segment_fixed_size: 0
    .sgpr_count:     18
    .sgpr_spill_count: 0
    .symbol:         _ZN9rocsparseL14nnz_kernel_colILi256Eli21rocsparse_complex_numIdEEEv16rocsparse_order_T1_S4_PKT2_lPT0_.kd
    .uniform_work_group_size: 1
    .uses_dynamic_stack: false
    .vgpr_count:     17
    .vgpr_spill_count: 0
    .wavefront_size: 32
    .workgroup_processor_mode: 1
  - .args:
      - .offset:         0
        .size:           4
        .value_kind:     by_value
      - .offset:         8
        .size:           8
        .value_kind:     by_value
      - .offset:         16
        .size:           8
        .value_kind:     by_value
      - .actual_access:  read_only
        .address_space:  global
        .offset:         24
        .size:           8
        .value_kind:     global_buffer
      - .offset:         32
        .size:           8
        .value_kind:     by_value
      - .actual_access:  write_only
        .address_space:  global
        .offset:         40
        .size:           8
        .value_kind:     global_buffer
      - .offset:         48
        .size:           4
        .value_kind:     hidden_block_count_x
      - .offset:         52
        .size:           4
        .value_kind:     hidden_block_count_y
      - .offset:         56
        .size:           4
        .value_kind:     hidden_block_count_z
      - .offset:         60
        .size:           2
        .value_kind:     hidden_group_size_x
      - .offset:         62
        .size:           2
        .value_kind:     hidden_group_size_y
      - .offset:         64
        .size:           2
        .value_kind:     hidden_group_size_z
      - .offset:         66
        .size:           2
        .value_kind:     hidden_remainder_x
      - .offset:         68
        .size:           2
        .value_kind:     hidden_remainder_y
      - .offset:         70
        .size:           2
        .value_kind:     hidden_remainder_z
      - .offset:         88
        .size:           8
        .value_kind:     hidden_global_offset_x
      - .offset:         96
        .size:           8
        .value_kind:     hidden_global_offset_y
      - .offset:         104
        .size:           8
        .value_kind:     hidden_global_offset_z
      - .offset:         112
        .size:           2
        .value_kind:     hidden_grid_dims
    .group_segment_fixed_size: 32768
    .kernarg_segment_align: 8
    .kernarg_segment_size: 304
    .language:       OpenCL C
    .language_version:
      - 2
      - 0
    .max_flat_workgroup_size: 1024
    .name:           _ZN9rocsparseL14nnz_kernel_rowILi64ELi16Ell18rocsparse_bfloat16EEv16rocsparse_order_T2_S3_PKT3_lPT1_
    .private_segment_fixed_size: 0
    .sgpr_count:     32
    .sgpr_spill_count: 0
    .symbol:         _ZN9rocsparseL14nnz_kernel_rowILi64ELi16Ell18rocsparse_bfloat16EEv16rocsparse_order_T2_S3_PKT3_lPT1_.kd
    .uniform_work_group_size: 1
    .uses_dynamic_stack: false
    .vgpr_count:     43
    .vgpr_spill_count: 0
    .wavefront_size: 32
    .workgroup_processor_mode: 1
  - .args:
      - .offset:         0
        .size:           4
        .value_kind:     by_value
      - .offset:         8
        .size:           8
        .value_kind:     by_value
      - .offset:         16
        .size:           8
        .value_kind:     by_value
      - .actual_access:  read_only
        .address_space:  global
        .offset:         24
        .size:           8
        .value_kind:     global_buffer
      - .offset:         32
        .size:           8
        .value_kind:     by_value
      - .actual_access:  write_only
        .address_space:  global
        .offset:         40
        .size:           8
        .value_kind:     global_buffer
    .group_segment_fixed_size: 2048
    .kernarg_segment_align: 8
    .kernarg_segment_size: 48
    .language:       OpenCL C
    .language_version:
      - 2
      - 0
    .max_flat_workgroup_size: 256
    .name:           _ZN9rocsparseL14nnz_kernel_colILi256Ell18rocsparse_bfloat16EEv16rocsparse_order_T1_S3_PKT2_lPT0_
    .private_segment_fixed_size: 0
    .sgpr_count:     20
    .sgpr_spill_count: 0
    .symbol:         _ZN9rocsparseL14nnz_kernel_colILi256Ell18rocsparse_bfloat16EEv16rocsparse_order_T1_S3_PKT2_lPT0_.kd
    .uniform_work_group_size: 1
    .uses_dynamic_stack: false
    .vgpr_count:     17
    .vgpr_spill_count: 0
    .wavefront_size: 32
    .workgroup_processor_mode: 1
  - .args:
      - .offset:         0
        .size:           4
        .value_kind:     by_value
      - .offset:         8
        .size:           8
        .value_kind:     by_value
      - .offset:         16
        .size:           8
        .value_kind:     by_value
      - .actual_access:  read_only
        .address_space:  global
        .offset:         24
        .size:           8
        .value_kind:     global_buffer
      - .offset:         32
        .size:           8
        .value_kind:     by_value
      - .actual_access:  write_only
        .address_space:  global
        .offset:         40
        .size:           8
        .value_kind:     global_buffer
      - .offset:         48
        .size:           4
        .value_kind:     hidden_block_count_x
      - .offset:         52
        .size:           4
        .value_kind:     hidden_block_count_y
      - .offset:         56
        .size:           4
        .value_kind:     hidden_block_count_z
      - .offset:         60
        .size:           2
        .value_kind:     hidden_group_size_x
      - .offset:         62
        .size:           2
        .value_kind:     hidden_group_size_y
      - .offset:         64
        .size:           2
        .value_kind:     hidden_group_size_z
      - .offset:         66
        .size:           2
        .value_kind:     hidden_remainder_x
      - .offset:         68
        .size:           2
        .value_kind:     hidden_remainder_y
      - .offset:         70
        .size:           2
        .value_kind:     hidden_remainder_z
      - .offset:         88
        .size:           8
        .value_kind:     hidden_global_offset_x
      - .offset:         96
        .size:           8
        .value_kind:     hidden_global_offset_y
      - .offset:         104
        .size:           8
        .value_kind:     hidden_global_offset_z
      - .offset:         112
        .size:           2
        .value_kind:     hidden_grid_dims
    .group_segment_fixed_size: 32768
    .kernarg_segment_align: 8
    .kernarg_segment_size: 304
    .language:       OpenCL C
    .language_version:
      - 2
      - 0
    .max_flat_workgroup_size: 1024
    .name:           _ZN9rocsparseL14nnz_kernel_rowILi64ELi16EllDF16_EEv16rocsparse_order_T2_S2_PKT3_lPT1_
    .private_segment_fixed_size: 0
    .sgpr_count:     32
    .sgpr_spill_count: 0
    .symbol:         _ZN9rocsparseL14nnz_kernel_rowILi64ELi16EllDF16_EEv16rocsparse_order_T2_S2_PKT3_lPT1_.kd
    .uniform_work_group_size: 1
    .uses_dynamic_stack: false
    .vgpr_count:     43
    .vgpr_spill_count: 0
    .wavefront_size: 32
    .workgroup_processor_mode: 1
  - .args:
      - .offset:         0
        .size:           4
        .value_kind:     by_value
      - .offset:         8
        .size:           8
        .value_kind:     by_value
      - .offset:         16
        .size:           8
        .value_kind:     by_value
      - .actual_access:  read_only
        .address_space:  global
        .offset:         24
        .size:           8
        .value_kind:     global_buffer
      - .offset:         32
        .size:           8
        .value_kind:     by_value
      - .actual_access:  write_only
        .address_space:  global
        .offset:         40
        .size:           8
        .value_kind:     global_buffer
    .group_segment_fixed_size: 2048
    .kernarg_segment_align: 8
    .kernarg_segment_size: 48
    .language:       OpenCL C
    .language_version:
      - 2
      - 0
    .max_flat_workgroup_size: 256
    .name:           _ZN9rocsparseL14nnz_kernel_colILi256EllDF16_EEv16rocsparse_order_T1_S2_PKT2_lPT0_
    .private_segment_fixed_size: 0
    .sgpr_count:     20
    .sgpr_spill_count: 0
    .symbol:         _ZN9rocsparseL14nnz_kernel_colILi256EllDF16_EEv16rocsparse_order_T1_S2_PKT2_lPT0_.kd
    .uniform_work_group_size: 1
    .uses_dynamic_stack: false
    .vgpr_count:     17
    .vgpr_spill_count: 0
    .wavefront_size: 32
    .workgroup_processor_mode: 1
  - .args:
      - .offset:         0
        .size:           4
        .value_kind:     by_value
      - .offset:         8
        .size:           8
        .value_kind:     by_value
      - .offset:         16
        .size:           8
        .value_kind:     by_value
      - .actual_access:  read_only
        .address_space:  global
        .offset:         24
        .size:           8
        .value_kind:     global_buffer
      - .offset:         32
        .size:           8
        .value_kind:     by_value
      - .actual_access:  write_only
        .address_space:  global
        .offset:         40
        .size:           8
        .value_kind:     global_buffer
      - .offset:         48
        .size:           4
        .value_kind:     hidden_block_count_x
      - .offset:         52
        .size:           4
        .value_kind:     hidden_block_count_y
      - .offset:         56
        .size:           4
        .value_kind:     hidden_block_count_z
      - .offset:         60
        .size:           2
        .value_kind:     hidden_group_size_x
      - .offset:         62
        .size:           2
        .value_kind:     hidden_group_size_y
      - .offset:         64
        .size:           2
        .value_kind:     hidden_group_size_z
      - .offset:         66
        .size:           2
        .value_kind:     hidden_remainder_x
      - .offset:         68
        .size:           2
        .value_kind:     hidden_remainder_y
      - .offset:         70
        .size:           2
        .value_kind:     hidden_remainder_z
      - .offset:         88
        .size:           8
        .value_kind:     hidden_global_offset_x
      - .offset:         96
        .size:           8
        .value_kind:     hidden_global_offset_y
      - .offset:         104
        .size:           8
        .value_kind:     hidden_global_offset_z
      - .offset:         112
        .size:           2
        .value_kind:     hidden_grid_dims
    .group_segment_fixed_size: 32768
    .kernarg_segment_align: 8
    .kernarg_segment_size: 304
    .language:       OpenCL C
    .language_version:
      - 2
      - 0
    .max_flat_workgroup_size: 1024
    .name:           _ZN9rocsparseL14nnz_kernel_rowILi64ELi16EllfEEv16rocsparse_order_T2_S2_PKT3_lPT1_
    .private_segment_fixed_size: 0
    .sgpr_count:     32
    .sgpr_spill_count: 0
    .symbol:         _ZN9rocsparseL14nnz_kernel_rowILi64ELi16EllfEEv16rocsparse_order_T2_S2_PKT3_lPT1_.kd
    .uniform_work_group_size: 1
    .uses_dynamic_stack: false
    .vgpr_count:     43
    .vgpr_spill_count: 0
    .wavefront_size: 32
    .workgroup_processor_mode: 1
  - .args:
      - .offset:         0
        .size:           4
        .value_kind:     by_value
      - .offset:         8
        .size:           8
        .value_kind:     by_value
      - .offset:         16
        .size:           8
        .value_kind:     by_value
      - .actual_access:  read_only
        .address_space:  global
        .offset:         24
        .size:           8
        .value_kind:     global_buffer
      - .offset:         32
        .size:           8
        .value_kind:     by_value
      - .actual_access:  write_only
        .address_space:  global
        .offset:         40
        .size:           8
        .value_kind:     global_buffer
    .group_segment_fixed_size: 2048
    .kernarg_segment_align: 8
    .kernarg_segment_size: 48
    .language:       OpenCL C
    .language_version:
      - 2
      - 0
    .max_flat_workgroup_size: 256
    .name:           _ZN9rocsparseL14nnz_kernel_colILi256EllfEEv16rocsparse_order_T1_S2_PKT2_lPT0_
    .private_segment_fixed_size: 0
    .sgpr_count:     20
    .sgpr_spill_count: 0
    .symbol:         _ZN9rocsparseL14nnz_kernel_colILi256EllfEEv16rocsparse_order_T1_S2_PKT2_lPT0_.kd
    .uniform_work_group_size: 1
    .uses_dynamic_stack: false
    .vgpr_count:     17
    .vgpr_spill_count: 0
    .wavefront_size: 32
    .workgroup_processor_mode: 1
  - .args:
      - .offset:         0
        .size:           4
        .value_kind:     by_value
      - .offset:         8
        .size:           8
        .value_kind:     by_value
      - .offset:         16
        .size:           8
        .value_kind:     by_value
      - .actual_access:  read_only
        .address_space:  global
        .offset:         24
        .size:           8
        .value_kind:     global_buffer
      - .offset:         32
        .size:           8
        .value_kind:     by_value
      - .actual_access:  write_only
        .address_space:  global
        .offset:         40
        .size:           8
        .value_kind:     global_buffer
      - .offset:         48
        .size:           4
        .value_kind:     hidden_block_count_x
      - .offset:         52
        .size:           4
        .value_kind:     hidden_block_count_y
      - .offset:         56
        .size:           4
        .value_kind:     hidden_block_count_z
      - .offset:         60
        .size:           2
        .value_kind:     hidden_group_size_x
      - .offset:         62
        .size:           2
        .value_kind:     hidden_group_size_y
      - .offset:         64
        .size:           2
        .value_kind:     hidden_group_size_z
      - .offset:         66
        .size:           2
        .value_kind:     hidden_remainder_x
      - .offset:         68
        .size:           2
        .value_kind:     hidden_remainder_y
      - .offset:         70
        .size:           2
        .value_kind:     hidden_remainder_z
      - .offset:         88
        .size:           8
        .value_kind:     hidden_global_offset_x
      - .offset:         96
        .size:           8
        .value_kind:     hidden_global_offset_y
      - .offset:         104
        .size:           8
        .value_kind:     hidden_global_offset_z
      - .offset:         112
        .size:           2
        .value_kind:     hidden_grid_dims
    .group_segment_fixed_size: 32768
    .kernarg_segment_align: 8
    .kernarg_segment_size: 304
    .language:       OpenCL C
    .language_version:
      - 2
      - 0
    .max_flat_workgroup_size: 1024
    .name:           _ZN9rocsparseL14nnz_kernel_rowILi64ELi16ElldEEv16rocsparse_order_T2_S2_PKT3_lPT1_
    .private_segment_fixed_size: 0
    .sgpr_count:     32
    .sgpr_spill_count: 0
    .symbol:         _ZN9rocsparseL14nnz_kernel_rowILi64ELi16ElldEEv16rocsparse_order_T2_S2_PKT3_lPT1_.kd
    .uniform_work_group_size: 1
    .uses_dynamic_stack: false
    .vgpr_count:     44
    .vgpr_spill_count: 0
    .wavefront_size: 32
    .workgroup_processor_mode: 1
  - .args:
      - .offset:         0
        .size:           4
        .value_kind:     by_value
      - .offset:         8
        .size:           8
        .value_kind:     by_value
      - .offset:         16
        .size:           8
        .value_kind:     by_value
      - .actual_access:  read_only
        .address_space:  global
        .offset:         24
        .size:           8
        .value_kind:     global_buffer
      - .offset:         32
        .size:           8
        .value_kind:     by_value
      - .actual_access:  write_only
        .address_space:  global
        .offset:         40
        .size:           8
        .value_kind:     global_buffer
    .group_segment_fixed_size: 2048
    .kernarg_segment_align: 8
    .kernarg_segment_size: 48
    .language:       OpenCL C
    .language_version:
      - 2
      - 0
    .max_flat_workgroup_size: 256
    .name:           _ZN9rocsparseL14nnz_kernel_colILi256ElldEEv16rocsparse_order_T1_S2_PKT2_lPT0_
    .private_segment_fixed_size: 0
    .sgpr_count:     20
    .sgpr_spill_count: 0
    .symbol:         _ZN9rocsparseL14nnz_kernel_colILi256ElldEEv16rocsparse_order_T1_S2_PKT2_lPT0_.kd
    .uniform_work_group_size: 1
    .uses_dynamic_stack: false
    .vgpr_count:     17
    .vgpr_spill_count: 0
    .wavefront_size: 32
    .workgroup_processor_mode: 1
  - .args:
      - .offset:         0
        .size:           4
        .value_kind:     by_value
      - .offset:         8
        .size:           8
        .value_kind:     by_value
      - .offset:         16
        .size:           8
        .value_kind:     by_value
      - .actual_access:  read_only
        .address_space:  global
        .offset:         24
        .size:           8
        .value_kind:     global_buffer
      - .offset:         32
        .size:           8
        .value_kind:     by_value
      - .actual_access:  write_only
        .address_space:  global
        .offset:         40
        .size:           8
        .value_kind:     global_buffer
      - .offset:         48
        .size:           4
        .value_kind:     hidden_block_count_x
      - .offset:         52
        .size:           4
        .value_kind:     hidden_block_count_y
      - .offset:         56
        .size:           4
        .value_kind:     hidden_block_count_z
      - .offset:         60
        .size:           2
        .value_kind:     hidden_group_size_x
      - .offset:         62
        .size:           2
        .value_kind:     hidden_group_size_y
      - .offset:         64
        .size:           2
        .value_kind:     hidden_group_size_z
      - .offset:         66
        .size:           2
        .value_kind:     hidden_remainder_x
      - .offset:         68
        .size:           2
        .value_kind:     hidden_remainder_y
      - .offset:         70
        .size:           2
        .value_kind:     hidden_remainder_z
      - .offset:         88
        .size:           8
        .value_kind:     hidden_global_offset_x
      - .offset:         96
        .size:           8
        .value_kind:     hidden_global_offset_y
      - .offset:         104
        .size:           8
        .value_kind:     hidden_global_offset_z
      - .offset:         112
        .size:           2
        .value_kind:     hidden_grid_dims
    .group_segment_fixed_size: 32768
    .kernarg_segment_align: 8
    .kernarg_segment_size: 304
    .language:       OpenCL C
    .language_version:
      - 2
      - 0
    .max_flat_workgroup_size: 1024
    .name:           _ZN9rocsparseL14nnz_kernel_rowILi64ELi16Ell21rocsparse_complex_numIfEEEv16rocsparse_order_T2_S4_PKT3_lPT1_
    .private_segment_fixed_size: 0
    .sgpr_count:     33
    .sgpr_spill_count: 0
    .symbol:         _ZN9rocsparseL14nnz_kernel_rowILi64ELi16Ell21rocsparse_complex_numIfEEEv16rocsparse_order_T2_S4_PKT3_lPT1_.kd
    .uniform_work_group_size: 1
    .uses_dynamic_stack: false
    .vgpr_count:     42
    .vgpr_spill_count: 0
    .wavefront_size: 32
    .workgroup_processor_mode: 1
  - .args:
      - .offset:         0
        .size:           4
        .value_kind:     by_value
      - .offset:         8
        .size:           8
        .value_kind:     by_value
      - .offset:         16
        .size:           8
        .value_kind:     by_value
      - .actual_access:  read_only
        .address_space:  global
        .offset:         24
        .size:           8
        .value_kind:     global_buffer
      - .offset:         32
        .size:           8
        .value_kind:     by_value
      - .actual_access:  write_only
        .address_space:  global
        .offset:         40
        .size:           8
        .value_kind:     global_buffer
    .group_segment_fixed_size: 2048
    .kernarg_segment_align: 8
    .kernarg_segment_size: 48
    .language:       OpenCL C
    .language_version:
      - 2
      - 0
    .max_flat_workgroup_size: 256
    .name:           _ZN9rocsparseL14nnz_kernel_colILi256Ell21rocsparse_complex_numIfEEEv16rocsparse_order_T1_S4_PKT2_lPT0_
    .private_segment_fixed_size: 0
    .sgpr_count:     20
    .sgpr_spill_count: 0
    .symbol:         _ZN9rocsparseL14nnz_kernel_colILi256Ell21rocsparse_complex_numIfEEEv16rocsparse_order_T1_S4_PKT2_lPT0_.kd
    .uniform_work_group_size: 1
    .uses_dynamic_stack: false
    .vgpr_count:     17
    .vgpr_spill_count: 0
    .wavefront_size: 32
    .workgroup_processor_mode: 1
  - .args:
      - .offset:         0
        .size:           4
        .value_kind:     by_value
      - .offset:         8
        .size:           8
        .value_kind:     by_value
      - .offset:         16
        .size:           8
        .value_kind:     by_value
      - .actual_access:  read_only
        .address_space:  global
        .offset:         24
        .size:           8
        .value_kind:     global_buffer
      - .offset:         32
        .size:           8
        .value_kind:     by_value
      - .actual_access:  write_only
        .address_space:  global
        .offset:         40
        .size:           8
        .value_kind:     global_buffer
      - .offset:         48
        .size:           4
        .value_kind:     hidden_block_count_x
      - .offset:         52
        .size:           4
        .value_kind:     hidden_block_count_y
      - .offset:         56
        .size:           4
        .value_kind:     hidden_block_count_z
      - .offset:         60
        .size:           2
        .value_kind:     hidden_group_size_x
      - .offset:         62
        .size:           2
        .value_kind:     hidden_group_size_y
      - .offset:         64
        .size:           2
        .value_kind:     hidden_group_size_z
      - .offset:         66
        .size:           2
        .value_kind:     hidden_remainder_x
      - .offset:         68
        .size:           2
        .value_kind:     hidden_remainder_y
      - .offset:         70
        .size:           2
        .value_kind:     hidden_remainder_z
      - .offset:         88
        .size:           8
        .value_kind:     hidden_global_offset_x
      - .offset:         96
        .size:           8
        .value_kind:     hidden_global_offset_y
      - .offset:         104
        .size:           8
        .value_kind:     hidden_global_offset_z
      - .offset:         112
        .size:           2
        .value_kind:     hidden_grid_dims
    .group_segment_fixed_size: 32768
    .kernarg_segment_align: 8
    .kernarg_segment_size: 304
    .language:       OpenCL C
    .language_version:
      - 2
      - 0
    .max_flat_workgroup_size: 1024
    .name:           _ZN9rocsparseL14nnz_kernel_rowILi64ELi16Ell21rocsparse_complex_numIdEEEv16rocsparse_order_T2_S4_PKT3_lPT1_
    .private_segment_fixed_size: 0
    .sgpr_count:     39
    .sgpr_spill_count: 0
    .symbol:         _ZN9rocsparseL14nnz_kernel_rowILi64ELi16Ell21rocsparse_complex_numIdEEEv16rocsparse_order_T2_S4_PKT3_lPT1_.kd
    .uniform_work_group_size: 1
    .uses_dynamic_stack: false
    .vgpr_count:     49
    .vgpr_spill_count: 0
    .wavefront_size: 32
    .workgroup_processor_mode: 1
  - .args:
      - .offset:         0
        .size:           4
        .value_kind:     by_value
      - .offset:         8
        .size:           8
        .value_kind:     by_value
      - .offset:         16
        .size:           8
        .value_kind:     by_value
      - .actual_access:  read_only
        .address_space:  global
        .offset:         24
        .size:           8
        .value_kind:     global_buffer
      - .offset:         32
        .size:           8
        .value_kind:     by_value
      - .actual_access:  write_only
        .address_space:  global
        .offset:         40
        .size:           8
        .value_kind:     global_buffer
    .group_segment_fixed_size: 2048
    .kernarg_segment_align: 8
    .kernarg_segment_size: 48
    .language:       OpenCL C
    .language_version:
      - 2
      - 0
    .max_flat_workgroup_size: 256
    .name:           _ZN9rocsparseL14nnz_kernel_colILi256Ell21rocsparse_complex_numIdEEEv16rocsparse_order_T1_S4_PKT2_lPT0_
    .private_segment_fixed_size: 0
    .sgpr_count:     20
    .sgpr_spill_count: 0
    .symbol:         _ZN9rocsparseL14nnz_kernel_colILi256Ell21rocsparse_complex_numIdEEEv16rocsparse_order_T1_S4_PKT2_lPT0_.kd
    .uniform_work_group_size: 1
    .uses_dynamic_stack: false
    .vgpr_count:     17
    .vgpr_spill_count: 0
    .wavefront_size: 32
    .workgroup_processor_mode: 1
amdhsa.target:   amdgcn-amd-amdhsa--gfx1100
amdhsa.version:
  - 1
  - 2
...

	.end_amdgpu_metadata
